;; amdgpu-corpus repo=ROCm/rocSPARSE kind=compiled arch=gfx1201 opt=O3
	.amdgcn_target "amdgcn-amd-amdhsa--gfx1201"
	.amdhsa_code_object_version 6
	.section	.text._ZN9rocsparseL22bsrxmvn_general_kernelILj64ELj8EfiifffEEv20rocsparse_direction_NS_24const_host_device_scalarIT1_EET3_PKS5_PKT2_SA_S7_PKT4_S5_PKT5_S4_PT6_21rocsparse_index_base_b,"axG",@progbits,_ZN9rocsparseL22bsrxmvn_general_kernelILj64ELj8EfiifffEEv20rocsparse_direction_NS_24const_host_device_scalarIT1_EET3_PKS5_PKT2_SA_S7_PKT4_S5_PKT5_S4_PT6_21rocsparse_index_base_b,comdat
	.globl	_ZN9rocsparseL22bsrxmvn_general_kernelILj64ELj8EfiifffEEv20rocsparse_direction_NS_24const_host_device_scalarIT1_EET3_PKS5_PKT2_SA_S7_PKT4_S5_PKT5_S4_PT6_21rocsparse_index_base_b ; -- Begin function _ZN9rocsparseL22bsrxmvn_general_kernelILj64ELj8EfiifffEEv20rocsparse_direction_NS_24const_host_device_scalarIT1_EET3_PKS5_PKT2_SA_S7_PKT4_S5_PKT5_S4_PT6_21rocsparse_index_base_b
	.p2align	8
	.type	_ZN9rocsparseL22bsrxmvn_general_kernelILj64ELj8EfiifffEEv20rocsparse_direction_NS_24const_host_device_scalarIT1_EET3_PKS5_PKT2_SA_S7_PKT4_S5_PKT5_S4_PT6_21rocsparse_index_base_b,@function
_ZN9rocsparseL22bsrxmvn_general_kernelILj64ELj8EfiifffEEv20rocsparse_direction_NS_24const_host_device_scalarIT1_EET3_PKS5_PKT2_SA_S7_PKT4_S5_PKT5_S4_PT6_21rocsparse_index_base_b: ; @_ZN9rocsparseL22bsrxmvn_general_kernelILj64ELj8EfiifffEEv20rocsparse_direction_NS_24const_host_device_scalarIT1_EET3_PKS5_PKT2_SA_S7_PKT4_S5_PKT5_S4_PT6_21rocsparse_index_base_b
; %bb.0:
	s_clause 0x2
	s_load_b64 s[2:3], s[0:1], 0x60
	s_load_b64 s[12:13], s[0:1], 0x8
	;; [unrolled: 1-line block ×3, first 2 shown]
	s_wait_kmcnt 0x0
	s_bitcmp1_b32 s3, 0
	s_cselect_b32 s3, -1, 0
	s_delay_alu instid0(SALU_CYCLE_1)
	s_and_b32 vcc_lo, exec_lo, s3
	s_xor_b32 s3, s3, -1
	s_cbranch_vccnz .LBB0_2
; %bb.1:
	s_load_b32 s12, s[12:13], 0x0
.LBB0_2:
	s_and_not1_b32 vcc_lo, exec_lo, s3
	s_cbranch_vccnz .LBB0_4
; %bb.3:
	s_load_b32 s14, s[14:15], 0x0
.LBB0_4:
	s_wait_kmcnt 0x0
	s_cmp_neq_f32 s12, 0
	s_cselect_b32 s3, -1, 0
	s_cmp_neq_f32 s14, 1.0
	s_cselect_b32 s4, -1, 0
	s_delay_alu instid0(SALU_CYCLE_1) | instskip(NEXT) | instid1(SALU_CYCLE_1)
	s_or_b32 s3, s3, s4
	s_and_not1_b32 vcc_lo, exec_lo, s3
	s_cbranch_vccnz .LBB0_27
; %bb.5:
	s_load_b64 s[4:5], s[0:1], 0x18
	s_wait_kmcnt 0x0
	s_cmp_eq_u64 s[4:5], 0
	s_cbranch_scc1 .LBB0_7
; %bb.6:
	s_mov_b32 s6, ttmp9
	s_ashr_i32 s7, ttmp9, 31
	s_delay_alu instid0(SALU_CYCLE_1) | instskip(NEXT) | instid1(SALU_CYCLE_1)
	s_lshl_b64 s[6:7], s[6:7], 2
	s_add_nc_u64 s[4:5], s[4:5], s[6:7]
	s_load_b32 s3, s[4:5], 0x0
	s_wait_kmcnt 0x0
	s_sub_co_i32 s22, s3, s2
	s_branch .LBB0_8
.LBB0_7:
	s_mov_b32 s22, ttmp9
.LBB0_8:
	s_load_b32 s16, s[0:1], 0x40
	v_lshrrev_b32_e32 v1, 3, v0
	s_mov_b32 s3, exec_lo
	s_wait_kmcnt 0x0
	s_delay_alu instid0(VALU_DEP_1)
	v_cmpx_gt_i32_e64 s16, v1
	s_cbranch_execz .LBB0_27
; %bb.9:
	s_load_b256 s[4:11], s[0:1], 0x20
	s_ashr_i32 s23, s22, 31
	v_mbcnt_lo_u32_b32 v5, -1, 0
	s_lshl_b64 s[18:19], s[22:23], 2
	s_load_b32 s15, s[0:1], 0x0
	v_dual_mov_b32 v2, 0 :: v_dual_and_b32 v3, 7, v0
	s_delay_alu instid0(VALU_DEP_2)
	v_xor_b32_e32 v6, 4, v5
	v_xor_b32_e32 v7, 2, v5
	;; [unrolled: 1-line block ×3, first 2 shown]
	v_mul_lo_u32 v0, s16, v1
	v_mul_lo_u32 v11, s16, v3
	v_cmp_gt_i32_e32 vcc_lo, 32, v6
	s_mov_b32 s17, 0
	s_mul_i32 s27, s22, s16
	v_cndmask_b32_e32 v6, v5, v6, vcc_lo
	v_cmp_gt_i32_e32 vcc_lo, 32, v7
	v_mov_b32_e32 v4, v2
	s_wait_kmcnt 0x0
	s_add_nc_u64 s[4:5], s[4:5], s[18:19]
	s_add_nc_u64 s[18:19], s[6:7], s[18:19]
	s_load_b32 s13, s[4:5], 0x0
	s_add_nc_u64 s[20:21], s[4:5], 4
	v_cndmask_b32_e32 v7, v5, v7, vcc_lo
	v_cmp_gt_i32_e32 vcc_lo, 32, v8
	s_delay_alu instid0(VALU_DEP_2) | instskip(SKIP_2) | instid1(VALU_DEP_1)
	v_lshlrev_b32_e32 v13, 2, v7
	s_wait_alu 0xfffd
	v_dual_cndmask_b32 v5, v5, v8 :: v_dual_lshlrev_b32 v12, 2, v6
	v_lshlrev_b32_e32 v14, 2, v5
	s_wait_kmcnt 0x0
	s_sub_co_i32 s4, s13, s2
	s_cmp_eq_u64 s[6:7], 0
	s_cselect_b32 s7, s21, s19
	s_cselect_b32 s6, s20, s18
	s_load_b32 s5, s[6:7], 0x0
	s_clause 0x1
	s_load_b64 s[6:7], s[0:1], 0x58
	s_load_b64 s[18:19], s[0:1], 0x48
	v_cmp_gt_u32_e64 s0, s16, v3
	v_cmp_eq_u32_e64 s1, 7, v3
	s_mul_u64 s[20:21], s[16:17], s[16:17]
	s_wait_kmcnt 0x0
	s_sub_co_i32 s3, s5, s2
	s_cmp_lt_i32 s13, s5
	s_cselect_b32 s13, -1, 0
	s_cmp_lg_u32 s15, 0
	s_cselect_b32 s15, -1, 0
	s_cmp_eq_f32 s14, 0
	s_cselect_b32 s26, -1, 0
	s_ashr_i32 s5, s4, 31
	s_delay_alu instid0(SALU_CYCLE_1)
	s_mul_u64 s[22:23], s[4:5], s[20:21]
	s_lshl_b32 s5, s16, 3
	s_branch .LBB0_11
.LBB0_10:                               ;   in Loop: Header=BB0_11 Depth=1
	s_wait_alu 0xfffe
	s_or_b32 exec_lo, exec_lo, s24
	v_add_nc_u32_e32 v1, 8, v1
	v_add_nc_u32_e32 v0, s5, v0
	s_delay_alu instid0(VALU_DEP_2)
	v_cmp_le_i32_e32 vcc_lo, s16, v1
	s_or_b32 s17, vcc_lo, s17
	s_wait_alu 0xfffe
	s_and_not1_b32 exec_lo, exec_lo, s17
	s_cbranch_execz .LBB0_27
.LBB0_11:                               ; =>This Loop Header: Depth=1
                                        ;     Child Loop BB0_15 Depth 2
                                        ;       Child Loop BB0_18 Depth 3
	v_mov_b32_e32 v15, 0
	s_and_not1_b32 vcc_lo, exec_lo, s13
	s_wait_alu 0xfffe
	s_cbranch_vccnz .LBB0_22
; %bb.12:                               ;   in Loop: Header=BB0_11 Depth=1
	v_ashrrev_i32_e32 v5, 31, v0
	v_add_co_u32 v16, vcc_lo, s22, v0
	v_mov_b32_e32 v15, 0
	s_mov_b32 s24, s4
	s_wait_alu 0xfffd
	v_add_co_ci_u32_e64 v17, null, s23, v5, vcc_lo
	s_branch .LBB0_15
.LBB0_13:                               ;   in Loop: Header=BB0_15 Depth=2
	s_or_b32 exec_lo, exec_lo, s25
.LBB0_14:                               ;   in Loop: Header=BB0_15 Depth=2
	s_wait_alu 0xfffe
	s_or_b32 exec_lo, exec_lo, s28
	v_add_co_u32 v16, vcc_lo, v16, s20
	s_wait_alu 0xfffd
	v_add_co_ci_u32_e64 v17, null, s21, v17, vcc_lo
	s_add_co_i32 s24, s24, 1
	s_wait_alu 0xfffe
	s_cmp_ge_i32 s24, s3
	s_cbranch_scc1 .LBB0_22
.LBB0_15:                               ;   Parent Loop BB0_11 Depth=1
                                        ; =>  This Loop Header: Depth=2
                                        ;       Child Loop BB0_18 Depth 3
	s_and_saveexec_b32 s28, s0
	s_cbranch_execz .LBB0_14
; %bb.16:                               ;   in Loop: Header=BB0_15 Depth=2
	s_wait_alu 0xfffe
	s_ashr_i32 s25, s24, 31
	s_wait_dscnt 0x0
	v_mad_co_u64_u32 v[5:6], null, s20, s24, v[1:2]
	s_wait_alu 0xfffe
	s_lshl_b64 s[30:31], s[24:25], 2
	s_mul_i32 s25, s20, s25
	s_wait_alu 0xfffe
	s_add_nc_u64 s[30:31], s[8:9], s[30:31]
	v_mov_b32_e32 v8, v4
	s_load_b32 s29, s[30:31], 0x0
	s_mul_i32 s30, s21, s24
	v_dual_mov_b32 v18, v11 :: v_dual_mov_b32 v7, v3
	s_wait_alu 0xfffe
	v_add3_u32 v6, s25, s30, v6
	s_wait_kmcnt 0x0
	s_sub_co_i32 s25, s29, s2
	s_wait_alu 0xfffe
	s_mul_i32 s29, s25, s16
	s_mov_b32 s25, 0
	s_branch .LBB0_18
.LBB0_17:                               ;   in Loop: Header=BB0_18 Depth=3
	v_add_nc_u32_e32 v19, s29, v7
	s_delay_alu instid0(VALU_DEP_2) | instskip(SKIP_1) | instid1(VALU_DEP_3)
	v_lshlrev_b64_e32 v[9:10], 2, v[9:10]
	v_add_nc_u32_e32 v18, s5, v18
	v_ashrrev_i32_e32 v20, 31, v19
	s_delay_alu instid0(VALU_DEP_3) | instskip(SKIP_1) | instid1(VALU_DEP_4)
	v_add_co_u32 v9, vcc_lo, s10, v9
	s_wait_alu 0xfffd
	v_add_co_ci_u32_e64 v10, null, s11, v10, vcc_lo
	s_delay_alu instid0(VALU_DEP_3) | instskip(NEXT) | instid1(VALU_DEP_1)
	v_lshlrev_b64_e32 v[19:20], 2, v[19:20]
	v_add_co_u32 v19, vcc_lo, s18, v19
	s_wait_alu 0xfffd
	s_delay_alu instid0(VALU_DEP_2)
	v_add_co_ci_u32_e64 v20, null, s19, v20, vcc_lo
	v_add_co_u32 v7, vcc_lo, v7, 8
	global_load_b32 v9, v[9:10], off
	global_load_b32 v10, v[19:20], off
	s_wait_alu 0xfffd
	v_add_co_ci_u32_e64 v8, null, 0, v8, vcc_lo
	v_cmp_le_i32_e32 vcc_lo, s16, v7
	s_or_b32 s25, vcc_lo, s25
	s_wait_loadcnt 0x0
	v_fmac_f32_e32 v15, v9, v10
	s_wait_alu 0xfffe
	s_and_not1_b32 exec_lo, exec_lo, s25
	s_cbranch_execz .LBB0_13
.LBB0_18:                               ;   Parent Loop BB0_11 Depth=1
                                        ;     Parent Loop BB0_15 Depth=2
                                        ; =>    This Inner Loop Header: Depth=3
	s_and_b32 vcc_lo, exec_lo, s15
	s_wait_alu 0xfffe
	s_cbranch_vccz .LBB0_20
; %bb.19:                               ;   in Loop: Header=BB0_18 Depth=3
	v_ashrrev_i32_e32 v10, 31, v18
	v_add_co_u32 v9, vcc_lo, v5, v18
	s_wait_alu 0xfffd
	s_delay_alu instid0(VALU_DEP_2)
	v_add_co_ci_u32_e64 v10, null, v6, v10, vcc_lo
	s_cbranch_execnz .LBB0_17
	s_branch .LBB0_21
.LBB0_20:                               ;   in Loop: Header=BB0_18 Depth=3
                                        ; implicit-def: $vgpr9_vgpr10
.LBB0_21:                               ;   in Loop: Header=BB0_18 Depth=3
	v_add_co_u32 v9, vcc_lo, v16, v7
	s_wait_alu 0xfffd
	v_add_co_ci_u32_e64 v10, null, v17, v8, vcc_lo
	s_branch .LBB0_17
.LBB0_22:                               ;   in Loop: Header=BB0_11 Depth=1
	ds_bpermute_b32 v5, v12, v15
	s_wait_dscnt 0x0
	v_add_f32_e32 v5, v15, v5
	ds_bpermute_b32 v6, v13, v5
	s_wait_dscnt 0x0
	v_add_f32_e32 v5, v5, v6
	ds_bpermute_b32 v6, v14, v5
	s_and_saveexec_b32 s24, s1
	s_cbranch_execz .LBB0_10
; %bb.23:                               ;   in Loop: Header=BB0_11 Depth=1
	s_wait_dscnt 0x0
	v_dual_add_f32 v6, v5, v6 :: v_dual_add_nc_u32 v5, s27, v1
	s_and_b32 vcc_lo, exec_lo, s26
	s_delay_alu instid0(VALU_DEP_1) | instskip(NEXT) | instid1(VALU_DEP_2)
	v_mul_f32_e32 v7, s12, v6
	v_ashrrev_i32_e32 v6, 31, v5
	s_wait_alu 0xfffe
	s_cbranch_vccz .LBB0_25
; %bb.24:                               ;   in Loop: Header=BB0_11 Depth=1
	s_delay_alu instid0(VALU_DEP_1) | instskip(NEXT) | instid1(VALU_DEP_1)
	v_lshlrev_b64_e32 v[8:9], 2, v[5:6]
	v_add_co_u32 v8, vcc_lo, s6, v8
	s_wait_alu 0xfffd
	s_delay_alu instid0(VALU_DEP_2)
	v_add_co_ci_u32_e64 v9, null, s7, v9, vcc_lo
	global_store_b32 v[8:9], v7, off
	s_cbranch_execnz .LBB0_10
	s_branch .LBB0_26
.LBB0_25:                               ;   in Loop: Header=BB0_11 Depth=1
.LBB0_26:                               ;   in Loop: Header=BB0_11 Depth=1
	s_delay_alu instid0(VALU_DEP_1) | instskip(NEXT) | instid1(VALU_DEP_1)
	v_lshlrev_b64_e32 v[5:6], 2, v[5:6]
	v_add_co_u32 v5, vcc_lo, s6, v5
	s_wait_alu 0xfffd
	s_delay_alu instid0(VALU_DEP_2)
	v_add_co_ci_u32_e64 v6, null, s7, v6, vcc_lo
	global_load_b32 v8, v[5:6], off
	s_wait_loadcnt 0x0
	v_fmac_f32_e32 v7, s14, v8
	global_store_b32 v[5:6], v7, off
	s_branch .LBB0_10
.LBB0_27:
	s_endpgm
	.section	.rodata,"a",@progbits
	.p2align	6, 0x0
	.amdhsa_kernel _ZN9rocsparseL22bsrxmvn_general_kernelILj64ELj8EfiifffEEv20rocsparse_direction_NS_24const_host_device_scalarIT1_EET3_PKS5_PKT2_SA_S7_PKT4_S5_PKT5_S4_PT6_21rocsparse_index_base_b
		.amdhsa_group_segment_fixed_size 0
		.amdhsa_private_segment_fixed_size 0
		.amdhsa_kernarg_size 104
		.amdhsa_user_sgpr_count 2
		.amdhsa_user_sgpr_dispatch_ptr 0
		.amdhsa_user_sgpr_queue_ptr 0
		.amdhsa_user_sgpr_kernarg_segment_ptr 1
		.amdhsa_user_sgpr_dispatch_id 0
		.amdhsa_user_sgpr_private_segment_size 0
		.amdhsa_wavefront_size32 1
		.amdhsa_uses_dynamic_stack 0
		.amdhsa_enable_private_segment 0
		.amdhsa_system_sgpr_workgroup_id_x 1
		.amdhsa_system_sgpr_workgroup_id_y 0
		.amdhsa_system_sgpr_workgroup_id_z 0
		.amdhsa_system_sgpr_workgroup_info 0
		.amdhsa_system_vgpr_workitem_id 0
		.amdhsa_next_free_vgpr 21
		.amdhsa_next_free_sgpr 32
		.amdhsa_reserve_vcc 1
		.amdhsa_float_round_mode_32 0
		.amdhsa_float_round_mode_16_64 0
		.amdhsa_float_denorm_mode_32 3
		.amdhsa_float_denorm_mode_16_64 3
		.amdhsa_fp16_overflow 0
		.amdhsa_workgroup_processor_mode 1
		.amdhsa_memory_ordered 1
		.amdhsa_forward_progress 1
		.amdhsa_inst_pref_size 10
		.amdhsa_round_robin_scheduling 0
		.amdhsa_exception_fp_ieee_invalid_op 0
		.amdhsa_exception_fp_denorm_src 0
		.amdhsa_exception_fp_ieee_div_zero 0
		.amdhsa_exception_fp_ieee_overflow 0
		.amdhsa_exception_fp_ieee_underflow 0
		.amdhsa_exception_fp_ieee_inexact 0
		.amdhsa_exception_int_div_zero 0
	.end_amdhsa_kernel
	.section	.text._ZN9rocsparseL22bsrxmvn_general_kernelILj64ELj8EfiifffEEv20rocsparse_direction_NS_24const_host_device_scalarIT1_EET3_PKS5_PKT2_SA_S7_PKT4_S5_PKT5_S4_PT6_21rocsparse_index_base_b,"axG",@progbits,_ZN9rocsparseL22bsrxmvn_general_kernelILj64ELj8EfiifffEEv20rocsparse_direction_NS_24const_host_device_scalarIT1_EET3_PKS5_PKT2_SA_S7_PKT4_S5_PKT5_S4_PT6_21rocsparse_index_base_b,comdat
.Lfunc_end0:
	.size	_ZN9rocsparseL22bsrxmvn_general_kernelILj64ELj8EfiifffEEv20rocsparse_direction_NS_24const_host_device_scalarIT1_EET3_PKS5_PKT2_SA_S7_PKT4_S5_PKT5_S4_PT6_21rocsparse_index_base_b, .Lfunc_end0-_ZN9rocsparseL22bsrxmvn_general_kernelILj64ELj8EfiifffEEv20rocsparse_direction_NS_24const_host_device_scalarIT1_EET3_PKS5_PKT2_SA_S7_PKT4_S5_PKT5_S4_PT6_21rocsparse_index_base_b
                                        ; -- End function
	.set _ZN9rocsparseL22bsrxmvn_general_kernelILj64ELj8EfiifffEEv20rocsparse_direction_NS_24const_host_device_scalarIT1_EET3_PKS5_PKT2_SA_S7_PKT4_S5_PKT5_S4_PT6_21rocsparse_index_base_b.num_vgpr, 21
	.set _ZN9rocsparseL22bsrxmvn_general_kernelILj64ELj8EfiifffEEv20rocsparse_direction_NS_24const_host_device_scalarIT1_EET3_PKS5_PKT2_SA_S7_PKT4_S5_PKT5_S4_PT6_21rocsparse_index_base_b.num_agpr, 0
	.set _ZN9rocsparseL22bsrxmvn_general_kernelILj64ELj8EfiifffEEv20rocsparse_direction_NS_24const_host_device_scalarIT1_EET3_PKS5_PKT2_SA_S7_PKT4_S5_PKT5_S4_PT6_21rocsparse_index_base_b.numbered_sgpr, 32
	.set _ZN9rocsparseL22bsrxmvn_general_kernelILj64ELj8EfiifffEEv20rocsparse_direction_NS_24const_host_device_scalarIT1_EET3_PKS5_PKT2_SA_S7_PKT4_S5_PKT5_S4_PT6_21rocsparse_index_base_b.num_named_barrier, 0
	.set _ZN9rocsparseL22bsrxmvn_general_kernelILj64ELj8EfiifffEEv20rocsparse_direction_NS_24const_host_device_scalarIT1_EET3_PKS5_PKT2_SA_S7_PKT4_S5_PKT5_S4_PT6_21rocsparse_index_base_b.private_seg_size, 0
	.set _ZN9rocsparseL22bsrxmvn_general_kernelILj64ELj8EfiifffEEv20rocsparse_direction_NS_24const_host_device_scalarIT1_EET3_PKS5_PKT2_SA_S7_PKT4_S5_PKT5_S4_PT6_21rocsparse_index_base_b.uses_vcc, 1
	.set _ZN9rocsparseL22bsrxmvn_general_kernelILj64ELj8EfiifffEEv20rocsparse_direction_NS_24const_host_device_scalarIT1_EET3_PKS5_PKT2_SA_S7_PKT4_S5_PKT5_S4_PT6_21rocsparse_index_base_b.uses_flat_scratch, 0
	.set _ZN9rocsparseL22bsrxmvn_general_kernelILj64ELj8EfiifffEEv20rocsparse_direction_NS_24const_host_device_scalarIT1_EET3_PKS5_PKT2_SA_S7_PKT4_S5_PKT5_S4_PT6_21rocsparse_index_base_b.has_dyn_sized_stack, 0
	.set _ZN9rocsparseL22bsrxmvn_general_kernelILj64ELj8EfiifffEEv20rocsparse_direction_NS_24const_host_device_scalarIT1_EET3_PKS5_PKT2_SA_S7_PKT4_S5_PKT5_S4_PT6_21rocsparse_index_base_b.has_recursion, 0
	.set _ZN9rocsparseL22bsrxmvn_general_kernelILj64ELj8EfiifffEEv20rocsparse_direction_NS_24const_host_device_scalarIT1_EET3_PKS5_PKT2_SA_S7_PKT4_S5_PKT5_S4_PT6_21rocsparse_index_base_b.has_indirect_call, 0
	.section	.AMDGPU.csdata,"",@progbits
; Kernel info:
; codeLenInByte = 1164
; TotalNumSgprs: 34
; NumVgprs: 21
; ScratchSize: 0
; MemoryBound: 0
; FloatMode: 240
; IeeeMode: 1
; LDSByteSize: 0 bytes/workgroup (compile time only)
; SGPRBlocks: 0
; VGPRBlocks: 2
; NumSGPRsForWavesPerEU: 34
; NumVGPRsForWavesPerEU: 21
; Occupancy: 16
; WaveLimiterHint : 1
; COMPUTE_PGM_RSRC2:SCRATCH_EN: 0
; COMPUTE_PGM_RSRC2:USER_SGPR: 2
; COMPUTE_PGM_RSRC2:TRAP_HANDLER: 0
; COMPUTE_PGM_RSRC2:TGID_X_EN: 1
; COMPUTE_PGM_RSRC2:TGID_Y_EN: 0
; COMPUTE_PGM_RSRC2:TGID_Z_EN: 0
; COMPUTE_PGM_RSRC2:TIDIG_COMP_CNT: 0
	.section	.text._ZN9rocsparseL22bsrxmvn_general_kernelILj256ELj16EfiifffEEv20rocsparse_direction_NS_24const_host_device_scalarIT1_EET3_PKS5_PKT2_SA_S7_PKT4_S5_PKT5_S4_PT6_21rocsparse_index_base_b,"axG",@progbits,_ZN9rocsparseL22bsrxmvn_general_kernelILj256ELj16EfiifffEEv20rocsparse_direction_NS_24const_host_device_scalarIT1_EET3_PKS5_PKT2_SA_S7_PKT4_S5_PKT5_S4_PT6_21rocsparse_index_base_b,comdat
	.globl	_ZN9rocsparseL22bsrxmvn_general_kernelILj256ELj16EfiifffEEv20rocsparse_direction_NS_24const_host_device_scalarIT1_EET3_PKS5_PKT2_SA_S7_PKT4_S5_PKT5_S4_PT6_21rocsparse_index_base_b ; -- Begin function _ZN9rocsparseL22bsrxmvn_general_kernelILj256ELj16EfiifffEEv20rocsparse_direction_NS_24const_host_device_scalarIT1_EET3_PKS5_PKT2_SA_S7_PKT4_S5_PKT5_S4_PT6_21rocsparse_index_base_b
	.p2align	8
	.type	_ZN9rocsparseL22bsrxmvn_general_kernelILj256ELj16EfiifffEEv20rocsparse_direction_NS_24const_host_device_scalarIT1_EET3_PKS5_PKT2_SA_S7_PKT4_S5_PKT5_S4_PT6_21rocsparse_index_base_b,@function
_ZN9rocsparseL22bsrxmvn_general_kernelILj256ELj16EfiifffEEv20rocsparse_direction_NS_24const_host_device_scalarIT1_EET3_PKS5_PKT2_SA_S7_PKT4_S5_PKT5_S4_PT6_21rocsparse_index_base_b: ; @_ZN9rocsparseL22bsrxmvn_general_kernelILj256ELj16EfiifffEEv20rocsparse_direction_NS_24const_host_device_scalarIT1_EET3_PKS5_PKT2_SA_S7_PKT4_S5_PKT5_S4_PT6_21rocsparse_index_base_b
; %bb.0:
	s_clause 0x2
	s_load_b64 s[2:3], s[0:1], 0x60
	s_load_b64 s[12:13], s[0:1], 0x8
	;; [unrolled: 1-line block ×3, first 2 shown]
	s_wait_kmcnt 0x0
	s_bitcmp1_b32 s3, 0
	s_cselect_b32 s3, -1, 0
	s_delay_alu instid0(SALU_CYCLE_1)
	s_and_b32 vcc_lo, exec_lo, s3
	s_xor_b32 s3, s3, -1
	s_cbranch_vccnz .LBB1_2
; %bb.1:
	s_load_b32 s12, s[12:13], 0x0
.LBB1_2:
	s_and_not1_b32 vcc_lo, exec_lo, s3
	s_cbranch_vccnz .LBB1_4
; %bb.3:
	s_load_b32 s14, s[14:15], 0x0
.LBB1_4:
	s_wait_kmcnt 0x0
	s_cmp_neq_f32 s12, 0
	s_cselect_b32 s3, -1, 0
	s_cmp_neq_f32 s14, 1.0
	s_cselect_b32 s4, -1, 0
	s_delay_alu instid0(SALU_CYCLE_1) | instskip(NEXT) | instid1(SALU_CYCLE_1)
	s_or_b32 s3, s3, s4
	s_and_not1_b32 vcc_lo, exec_lo, s3
	s_cbranch_vccnz .LBB1_27
; %bb.5:
	s_load_b64 s[4:5], s[0:1], 0x18
	s_wait_kmcnt 0x0
	s_cmp_eq_u64 s[4:5], 0
	s_cbranch_scc1 .LBB1_7
; %bb.6:
	s_mov_b32 s6, ttmp9
	s_ashr_i32 s7, ttmp9, 31
	s_delay_alu instid0(SALU_CYCLE_1) | instskip(NEXT) | instid1(SALU_CYCLE_1)
	s_lshl_b64 s[6:7], s[6:7], 2
	s_add_nc_u64 s[4:5], s[4:5], s[6:7]
	s_load_b32 s3, s[4:5], 0x0
	s_wait_kmcnt 0x0
	s_sub_co_i32 s22, s3, s2
	s_branch .LBB1_8
.LBB1_7:
	s_mov_b32 s22, ttmp9
.LBB1_8:
	s_load_b32 s16, s[0:1], 0x40
	v_lshrrev_b32_e32 v1, 4, v0
	s_mov_b32 s3, exec_lo
	s_wait_kmcnt 0x0
	s_delay_alu instid0(VALU_DEP_1)
	v_cmpx_gt_i32_e64 s16, v1
	s_cbranch_execz .LBB1_27
; %bb.9:
	s_load_b256 s[4:11], s[0:1], 0x20
	s_ashr_i32 s23, s22, 31
	v_mbcnt_lo_u32_b32 v5, -1, 0
	s_lshl_b64 s[20:21], s[22:23], 2
	s_load_b32 s15, s[0:1], 0x0
	v_dual_mov_b32 v2, 0 :: v_dual_and_b32 v3, 15, v0
	s_delay_alu instid0(VALU_DEP_2)
	v_xor_b32_e32 v6, 8, v5
	v_xor_b32_e32 v7, 4, v5
	;; [unrolled: 1-line block ×4, first 2 shown]
	v_mul_lo_u32 v0, s16, v1
	v_cmp_gt_i32_e32 vcc_lo, 32, v6
	v_mul_lo_u32 v11, s16, v3
	s_mov_b32 s17, 0
	s_mul_i32 s27, s22, s16
	v_cndmask_b32_e32 v6, v5, v6, vcc_lo
	v_cmp_gt_i32_e32 vcc_lo, 32, v7
	v_mov_b32_e32 v4, v2
	s_wait_kmcnt 0x0
	s_add_nc_u64 s[24:25], s[4:5], s[20:21]
	s_load_b32 s13, s[24:25], 0x0
	s_clause 0x1
	s_load_b64 s[4:5], s[0:1], 0x58
	s_load_b64 s[18:19], s[0:1], 0x48
	s_add_nc_u64 s[0:1], s[6:7], s[20:21]
	s_add_nc_u64 s[24:25], s[24:25], 4
	v_cndmask_b32_e32 v7, v5, v7, vcc_lo
	v_cmp_gt_i32_e32 vcc_lo, 32, v8
	s_wait_alu 0xfffd
	s_delay_alu instid0(VALU_DEP_2)
	v_dual_cndmask_b32 v8, v5, v8 :: v_dual_lshlrev_b32 v13, 2, v7
	v_cmp_gt_i32_e32 vcc_lo, 32, v9
	s_wait_alu 0xfffd
	v_dual_cndmask_b32 v5, v5, v9 :: v_dual_lshlrev_b32 v12, 2, v6
	s_wait_kmcnt 0x0
	s_sub_co_i32 s20, s13, s2
	s_cmp_eq_u64 s[6:7], 0
	s_delay_alu instid0(VALU_DEP_1)
	v_lshlrev_b32_e32 v15, 2, v5
	s_cselect_b32 s1, s25, s1
	s_cselect_b32 s0, s24, s0
	v_lshlrev_b32_e32 v14, 2, v8
	s_load_b32 s21, s[0:1], 0x0
	v_cmp_gt_u32_e64 s0, s16, v3
	v_cmp_eq_u32_e64 s1, 15, v3
	s_mul_u64 s[6:7], s[16:17], s[16:17]
	s_wait_kmcnt 0x0
	s_sub_co_i32 s3, s21, s2
	s_cmp_lt_i32 s13, s21
	s_cselect_b32 s13, -1, 0
	s_cmp_lg_u32 s15, 0
	s_cselect_b32 s15, -1, 0
	s_cmp_eq_f32 s14, 0
	s_cselect_b32 s26, -1, 0
	s_ashr_i32 s21, s20, 31
	s_delay_alu instid0(SALU_CYCLE_1)
	s_mul_u64 s[22:23], s[20:21], s[6:7]
	s_lshl_b32 s21, s16, 4
	s_branch .LBB1_11
.LBB1_10:                               ;   in Loop: Header=BB1_11 Depth=1
	s_wait_alu 0xfffe
	s_or_b32 exec_lo, exec_lo, s24
	v_add_nc_u32_e32 v1, 16, v1
	v_add_nc_u32_e32 v0, s21, v0
	s_delay_alu instid0(VALU_DEP_2)
	v_cmp_le_i32_e32 vcc_lo, s16, v1
	s_or_b32 s17, vcc_lo, s17
	s_wait_alu 0xfffe
	s_and_not1_b32 exec_lo, exec_lo, s17
	s_cbranch_execz .LBB1_27
.LBB1_11:                               ; =>This Loop Header: Depth=1
                                        ;     Child Loop BB1_15 Depth 2
                                        ;       Child Loop BB1_18 Depth 3
	v_mov_b32_e32 v16, 0
	s_and_not1_b32 vcc_lo, exec_lo, s13
	s_wait_alu 0xfffe
	s_cbranch_vccnz .LBB1_22
; %bb.12:                               ;   in Loop: Header=BB1_11 Depth=1
	v_ashrrev_i32_e32 v5, 31, v0
	v_add_co_u32 v17, vcc_lo, s22, v0
	v_mov_b32_e32 v16, 0
	s_mov_b32 s24, s20
	s_wait_alu 0xfffd
	v_add_co_ci_u32_e64 v18, null, s23, v5, vcc_lo
	s_branch .LBB1_15
.LBB1_13:                               ;   in Loop: Header=BB1_15 Depth=2
	s_or_b32 exec_lo, exec_lo, s25
.LBB1_14:                               ;   in Loop: Header=BB1_15 Depth=2
	s_wait_alu 0xfffe
	s_or_b32 exec_lo, exec_lo, s28
	v_add_co_u32 v17, vcc_lo, v17, s6
	s_wait_alu 0xfffd
	v_add_co_ci_u32_e64 v18, null, s7, v18, vcc_lo
	s_add_co_i32 s24, s24, 1
	s_wait_alu 0xfffe
	s_cmp_ge_i32 s24, s3
	s_cbranch_scc1 .LBB1_22
.LBB1_15:                               ;   Parent Loop BB1_11 Depth=1
                                        ; =>  This Loop Header: Depth=2
                                        ;       Child Loop BB1_18 Depth 3
	s_and_saveexec_b32 s28, s0
	s_cbranch_execz .LBB1_14
; %bb.16:                               ;   in Loop: Header=BB1_15 Depth=2
	s_wait_alu 0xfffe
	s_ashr_i32 s25, s24, 31
	s_wait_dscnt 0x0
	v_mad_co_u64_u32 v[5:6], null, s6, s24, v[1:2]
	s_wait_alu 0xfffe
	s_lshl_b64 s[30:31], s[24:25], 2
	s_mul_i32 s25, s6, s25
	s_wait_alu 0xfffe
	s_add_nc_u64 s[30:31], s[8:9], s[30:31]
	v_dual_mov_b32 v19, v11 :: v_dual_mov_b32 v8, v4
	s_load_b32 s29, s[30:31], 0x0
	s_mul_i32 s30, s7, s24
	v_mov_b32_e32 v7, v3
	s_wait_alu 0xfffe
	v_add3_u32 v6, s25, s30, v6
	s_wait_kmcnt 0x0
	s_sub_co_i32 s25, s29, s2
	s_wait_alu 0xfffe
	s_mul_i32 s29, s25, s16
	s_mov_b32 s25, 0
	s_branch .LBB1_18
.LBB1_17:                               ;   in Loop: Header=BB1_18 Depth=3
	v_add_nc_u32_e32 v20, s29, v7
	s_delay_alu instid0(VALU_DEP_2) | instskip(SKIP_1) | instid1(VALU_DEP_3)
	v_lshlrev_b64_e32 v[9:10], 2, v[9:10]
	v_add_nc_u32_e32 v19, s21, v19
	v_ashrrev_i32_e32 v21, 31, v20
	s_delay_alu instid0(VALU_DEP_3) | instskip(SKIP_1) | instid1(VALU_DEP_4)
	v_add_co_u32 v9, vcc_lo, s10, v9
	s_wait_alu 0xfffd
	v_add_co_ci_u32_e64 v10, null, s11, v10, vcc_lo
	s_delay_alu instid0(VALU_DEP_3) | instskip(NEXT) | instid1(VALU_DEP_1)
	v_lshlrev_b64_e32 v[20:21], 2, v[20:21]
	v_add_co_u32 v20, vcc_lo, s18, v20
	s_wait_alu 0xfffd
	s_delay_alu instid0(VALU_DEP_2)
	v_add_co_ci_u32_e64 v21, null, s19, v21, vcc_lo
	global_load_b32 v9, v[9:10], off
	global_load_b32 v10, v[20:21], off
	v_add_co_u32 v7, vcc_lo, v7, 16
	s_wait_alu 0xfffd
	v_add_co_ci_u32_e64 v8, null, 0, v8, vcc_lo
	s_delay_alu instid0(VALU_DEP_2)
	v_cmp_le_i32_e32 vcc_lo, s16, v7
	s_or_b32 s25, vcc_lo, s25
	s_wait_loadcnt 0x0
	v_fmac_f32_e32 v16, v9, v10
	s_wait_alu 0xfffe
	s_and_not1_b32 exec_lo, exec_lo, s25
	s_cbranch_execz .LBB1_13
.LBB1_18:                               ;   Parent Loop BB1_11 Depth=1
                                        ;     Parent Loop BB1_15 Depth=2
                                        ; =>    This Inner Loop Header: Depth=3
	s_and_b32 vcc_lo, exec_lo, s15
	s_wait_alu 0xfffe
	s_cbranch_vccz .LBB1_20
; %bb.19:                               ;   in Loop: Header=BB1_18 Depth=3
	v_ashrrev_i32_e32 v10, 31, v19
	v_add_co_u32 v9, vcc_lo, v5, v19
	s_wait_alu 0xfffd
	s_delay_alu instid0(VALU_DEP_2)
	v_add_co_ci_u32_e64 v10, null, v6, v10, vcc_lo
	s_cbranch_execnz .LBB1_17
	s_branch .LBB1_21
.LBB1_20:                               ;   in Loop: Header=BB1_18 Depth=3
                                        ; implicit-def: $vgpr9_vgpr10
.LBB1_21:                               ;   in Loop: Header=BB1_18 Depth=3
	v_add_co_u32 v9, vcc_lo, v17, v7
	s_wait_alu 0xfffd
	v_add_co_ci_u32_e64 v10, null, v18, v8, vcc_lo
	s_branch .LBB1_17
.LBB1_22:                               ;   in Loop: Header=BB1_11 Depth=1
	ds_bpermute_b32 v5, v12, v16
	s_wait_dscnt 0x0
	v_add_f32_e32 v5, v16, v5
	ds_bpermute_b32 v6, v13, v5
	s_wait_dscnt 0x0
	v_add_f32_e32 v5, v5, v6
	;; [unrolled: 3-line block ×3, first 2 shown]
	ds_bpermute_b32 v6, v15, v5
	s_and_saveexec_b32 s24, s1
	s_cbranch_execz .LBB1_10
; %bb.23:                               ;   in Loop: Header=BB1_11 Depth=1
	s_wait_dscnt 0x0
	v_dual_add_f32 v6, v5, v6 :: v_dual_add_nc_u32 v5, s27, v1
	s_and_b32 vcc_lo, exec_lo, s26
	s_delay_alu instid0(VALU_DEP_1) | instskip(NEXT) | instid1(VALU_DEP_2)
	v_mul_f32_e32 v7, s12, v6
	v_ashrrev_i32_e32 v6, 31, v5
	s_wait_alu 0xfffe
	s_cbranch_vccz .LBB1_25
; %bb.24:                               ;   in Loop: Header=BB1_11 Depth=1
	s_delay_alu instid0(VALU_DEP_1) | instskip(NEXT) | instid1(VALU_DEP_1)
	v_lshlrev_b64_e32 v[8:9], 2, v[5:6]
	v_add_co_u32 v8, vcc_lo, s4, v8
	s_wait_alu 0xfffd
	s_delay_alu instid0(VALU_DEP_2)
	v_add_co_ci_u32_e64 v9, null, s5, v9, vcc_lo
	global_store_b32 v[8:9], v7, off
	s_cbranch_execnz .LBB1_10
	s_branch .LBB1_26
.LBB1_25:                               ;   in Loop: Header=BB1_11 Depth=1
.LBB1_26:                               ;   in Loop: Header=BB1_11 Depth=1
	s_delay_alu instid0(VALU_DEP_1) | instskip(NEXT) | instid1(VALU_DEP_1)
	v_lshlrev_b64_e32 v[5:6], 2, v[5:6]
	v_add_co_u32 v5, vcc_lo, s4, v5
	s_wait_alu 0xfffd
	s_delay_alu instid0(VALU_DEP_2)
	v_add_co_ci_u32_e64 v6, null, s5, v6, vcc_lo
	global_load_b32 v8, v[5:6], off
	s_wait_loadcnt 0x0
	v_fmac_f32_e32 v7, s14, v8
	global_store_b32 v[5:6], v7, off
	s_branch .LBB1_10
.LBB1_27:
	s_endpgm
	.section	.rodata,"a",@progbits
	.p2align	6, 0x0
	.amdhsa_kernel _ZN9rocsparseL22bsrxmvn_general_kernelILj256ELj16EfiifffEEv20rocsparse_direction_NS_24const_host_device_scalarIT1_EET3_PKS5_PKT2_SA_S7_PKT4_S5_PKT5_S4_PT6_21rocsparse_index_base_b
		.amdhsa_group_segment_fixed_size 0
		.amdhsa_private_segment_fixed_size 0
		.amdhsa_kernarg_size 104
		.amdhsa_user_sgpr_count 2
		.amdhsa_user_sgpr_dispatch_ptr 0
		.amdhsa_user_sgpr_queue_ptr 0
		.amdhsa_user_sgpr_kernarg_segment_ptr 1
		.amdhsa_user_sgpr_dispatch_id 0
		.amdhsa_user_sgpr_private_segment_size 0
		.amdhsa_wavefront_size32 1
		.amdhsa_uses_dynamic_stack 0
		.amdhsa_enable_private_segment 0
		.amdhsa_system_sgpr_workgroup_id_x 1
		.amdhsa_system_sgpr_workgroup_id_y 0
		.amdhsa_system_sgpr_workgroup_id_z 0
		.amdhsa_system_sgpr_workgroup_info 0
		.amdhsa_system_vgpr_workitem_id 0
		.amdhsa_next_free_vgpr 22
		.amdhsa_next_free_sgpr 32
		.amdhsa_reserve_vcc 1
		.amdhsa_float_round_mode_32 0
		.amdhsa_float_round_mode_16_64 0
		.amdhsa_float_denorm_mode_32 3
		.amdhsa_float_denorm_mode_16_64 3
		.amdhsa_fp16_overflow 0
		.amdhsa_workgroup_processor_mode 1
		.amdhsa_memory_ordered 1
		.amdhsa_forward_progress 1
		.amdhsa_inst_pref_size 10
		.amdhsa_round_robin_scheduling 0
		.amdhsa_exception_fp_ieee_invalid_op 0
		.amdhsa_exception_fp_denorm_src 0
		.amdhsa_exception_fp_ieee_div_zero 0
		.amdhsa_exception_fp_ieee_overflow 0
		.amdhsa_exception_fp_ieee_underflow 0
		.amdhsa_exception_fp_ieee_inexact 0
		.amdhsa_exception_int_div_zero 0
	.end_amdhsa_kernel
	.section	.text._ZN9rocsparseL22bsrxmvn_general_kernelILj256ELj16EfiifffEEv20rocsparse_direction_NS_24const_host_device_scalarIT1_EET3_PKS5_PKT2_SA_S7_PKT4_S5_PKT5_S4_PT6_21rocsparse_index_base_b,"axG",@progbits,_ZN9rocsparseL22bsrxmvn_general_kernelILj256ELj16EfiifffEEv20rocsparse_direction_NS_24const_host_device_scalarIT1_EET3_PKS5_PKT2_SA_S7_PKT4_S5_PKT5_S4_PT6_21rocsparse_index_base_b,comdat
.Lfunc_end1:
	.size	_ZN9rocsparseL22bsrxmvn_general_kernelILj256ELj16EfiifffEEv20rocsparse_direction_NS_24const_host_device_scalarIT1_EET3_PKS5_PKT2_SA_S7_PKT4_S5_PKT5_S4_PT6_21rocsparse_index_base_b, .Lfunc_end1-_ZN9rocsparseL22bsrxmvn_general_kernelILj256ELj16EfiifffEEv20rocsparse_direction_NS_24const_host_device_scalarIT1_EET3_PKS5_PKT2_SA_S7_PKT4_S5_PKT5_S4_PT6_21rocsparse_index_base_b
                                        ; -- End function
	.set _ZN9rocsparseL22bsrxmvn_general_kernelILj256ELj16EfiifffEEv20rocsparse_direction_NS_24const_host_device_scalarIT1_EET3_PKS5_PKT2_SA_S7_PKT4_S5_PKT5_S4_PT6_21rocsparse_index_base_b.num_vgpr, 22
	.set _ZN9rocsparseL22bsrxmvn_general_kernelILj256ELj16EfiifffEEv20rocsparse_direction_NS_24const_host_device_scalarIT1_EET3_PKS5_PKT2_SA_S7_PKT4_S5_PKT5_S4_PT6_21rocsparse_index_base_b.num_agpr, 0
	.set _ZN9rocsparseL22bsrxmvn_general_kernelILj256ELj16EfiifffEEv20rocsparse_direction_NS_24const_host_device_scalarIT1_EET3_PKS5_PKT2_SA_S7_PKT4_S5_PKT5_S4_PT6_21rocsparse_index_base_b.numbered_sgpr, 32
	.set _ZN9rocsparseL22bsrxmvn_general_kernelILj256ELj16EfiifffEEv20rocsparse_direction_NS_24const_host_device_scalarIT1_EET3_PKS5_PKT2_SA_S7_PKT4_S5_PKT5_S4_PT6_21rocsparse_index_base_b.num_named_barrier, 0
	.set _ZN9rocsparseL22bsrxmvn_general_kernelILj256ELj16EfiifffEEv20rocsparse_direction_NS_24const_host_device_scalarIT1_EET3_PKS5_PKT2_SA_S7_PKT4_S5_PKT5_S4_PT6_21rocsparse_index_base_b.private_seg_size, 0
	.set _ZN9rocsparseL22bsrxmvn_general_kernelILj256ELj16EfiifffEEv20rocsparse_direction_NS_24const_host_device_scalarIT1_EET3_PKS5_PKT2_SA_S7_PKT4_S5_PKT5_S4_PT6_21rocsparse_index_base_b.uses_vcc, 1
	.set _ZN9rocsparseL22bsrxmvn_general_kernelILj256ELj16EfiifffEEv20rocsparse_direction_NS_24const_host_device_scalarIT1_EET3_PKS5_PKT2_SA_S7_PKT4_S5_PKT5_S4_PT6_21rocsparse_index_base_b.uses_flat_scratch, 0
	.set _ZN9rocsparseL22bsrxmvn_general_kernelILj256ELj16EfiifffEEv20rocsparse_direction_NS_24const_host_device_scalarIT1_EET3_PKS5_PKT2_SA_S7_PKT4_S5_PKT5_S4_PT6_21rocsparse_index_base_b.has_dyn_sized_stack, 0
	.set _ZN9rocsparseL22bsrxmvn_general_kernelILj256ELj16EfiifffEEv20rocsparse_direction_NS_24const_host_device_scalarIT1_EET3_PKS5_PKT2_SA_S7_PKT4_S5_PKT5_S4_PT6_21rocsparse_index_base_b.has_recursion, 0
	.set _ZN9rocsparseL22bsrxmvn_general_kernelILj256ELj16EfiifffEEv20rocsparse_direction_NS_24const_host_device_scalarIT1_EET3_PKS5_PKT2_SA_S7_PKT4_S5_PKT5_S4_PT6_21rocsparse_index_base_b.has_indirect_call, 0
	.section	.AMDGPU.csdata,"",@progbits
; Kernel info:
; codeLenInByte = 1208
; TotalNumSgprs: 34
; NumVgprs: 22
; ScratchSize: 0
; MemoryBound: 0
; FloatMode: 240
; IeeeMode: 1
; LDSByteSize: 0 bytes/workgroup (compile time only)
; SGPRBlocks: 0
; VGPRBlocks: 2
; NumSGPRsForWavesPerEU: 34
; NumVGPRsForWavesPerEU: 22
; Occupancy: 16
; WaveLimiterHint : 1
; COMPUTE_PGM_RSRC2:SCRATCH_EN: 0
; COMPUTE_PGM_RSRC2:USER_SGPR: 2
; COMPUTE_PGM_RSRC2:TRAP_HANDLER: 0
; COMPUTE_PGM_RSRC2:TGID_X_EN: 1
; COMPUTE_PGM_RSRC2:TGID_Y_EN: 0
; COMPUTE_PGM_RSRC2:TGID_Z_EN: 0
; COMPUTE_PGM_RSRC2:TIDIG_COMP_CNT: 0
	.section	.text._ZN9rocsparseL22bsrxmvn_general_kernelILj1024ELj32EfiifffEEv20rocsparse_direction_NS_24const_host_device_scalarIT1_EET3_PKS5_PKT2_SA_S7_PKT4_S5_PKT5_S4_PT6_21rocsparse_index_base_b,"axG",@progbits,_ZN9rocsparseL22bsrxmvn_general_kernelILj1024ELj32EfiifffEEv20rocsparse_direction_NS_24const_host_device_scalarIT1_EET3_PKS5_PKT2_SA_S7_PKT4_S5_PKT5_S4_PT6_21rocsparse_index_base_b,comdat
	.globl	_ZN9rocsparseL22bsrxmvn_general_kernelILj1024ELj32EfiifffEEv20rocsparse_direction_NS_24const_host_device_scalarIT1_EET3_PKS5_PKT2_SA_S7_PKT4_S5_PKT5_S4_PT6_21rocsparse_index_base_b ; -- Begin function _ZN9rocsparseL22bsrxmvn_general_kernelILj1024ELj32EfiifffEEv20rocsparse_direction_NS_24const_host_device_scalarIT1_EET3_PKS5_PKT2_SA_S7_PKT4_S5_PKT5_S4_PT6_21rocsparse_index_base_b
	.p2align	8
	.type	_ZN9rocsparseL22bsrxmvn_general_kernelILj1024ELj32EfiifffEEv20rocsparse_direction_NS_24const_host_device_scalarIT1_EET3_PKS5_PKT2_SA_S7_PKT4_S5_PKT5_S4_PT6_21rocsparse_index_base_b,@function
_ZN9rocsparseL22bsrxmvn_general_kernelILj1024ELj32EfiifffEEv20rocsparse_direction_NS_24const_host_device_scalarIT1_EET3_PKS5_PKT2_SA_S7_PKT4_S5_PKT5_S4_PT6_21rocsparse_index_base_b: ; @_ZN9rocsparseL22bsrxmvn_general_kernelILj1024ELj32EfiifffEEv20rocsparse_direction_NS_24const_host_device_scalarIT1_EET3_PKS5_PKT2_SA_S7_PKT4_S5_PKT5_S4_PT6_21rocsparse_index_base_b
; %bb.0:
	s_clause 0x2
	s_load_b64 s[2:3], s[0:1], 0x60
	s_load_b64 s[12:13], s[0:1], 0x8
	;; [unrolled: 1-line block ×3, first 2 shown]
	s_wait_kmcnt 0x0
	s_bitcmp1_b32 s3, 0
	s_cselect_b32 s3, -1, 0
	s_delay_alu instid0(SALU_CYCLE_1)
	s_and_b32 vcc_lo, exec_lo, s3
	s_xor_b32 s3, s3, -1
	s_cbranch_vccnz .LBB2_2
; %bb.1:
	s_load_b32 s12, s[12:13], 0x0
.LBB2_2:
	s_and_not1_b32 vcc_lo, exec_lo, s3
	s_cbranch_vccnz .LBB2_4
; %bb.3:
	s_load_b32 s14, s[14:15], 0x0
.LBB2_4:
	s_wait_kmcnt 0x0
	s_cmp_neq_f32 s12, 0
	s_cselect_b32 s3, -1, 0
	s_cmp_neq_f32 s14, 1.0
	s_cselect_b32 s4, -1, 0
	s_delay_alu instid0(SALU_CYCLE_1) | instskip(NEXT) | instid1(SALU_CYCLE_1)
	s_or_b32 s3, s3, s4
	s_and_not1_b32 vcc_lo, exec_lo, s3
	s_cbranch_vccnz .LBB2_27
; %bb.5:
	s_load_b64 s[4:5], s[0:1], 0x18
	s_wait_kmcnt 0x0
	s_cmp_eq_u64 s[4:5], 0
	s_cbranch_scc1 .LBB2_7
; %bb.6:
	s_mov_b32 s6, ttmp9
	s_ashr_i32 s7, ttmp9, 31
	s_delay_alu instid0(SALU_CYCLE_1) | instskip(NEXT) | instid1(SALU_CYCLE_1)
	s_lshl_b64 s[6:7], s[6:7], 2
	s_add_nc_u64 s[4:5], s[4:5], s[6:7]
	s_load_b32 s3, s[4:5], 0x0
	s_wait_kmcnt 0x0
	s_sub_co_i32 s22, s3, s2
	s_branch .LBB2_8
.LBB2_7:
	s_mov_b32 s22, ttmp9
.LBB2_8:
	s_load_b32 s16, s[0:1], 0x40
	v_lshrrev_b32_e32 v1, 5, v0
	s_mov_b32 s3, exec_lo
	s_wait_kmcnt 0x0
	s_delay_alu instid0(VALU_DEP_1)
	v_cmpx_gt_i32_e64 s16, v1
	s_cbranch_execz .LBB2_27
; %bb.9:
	s_load_b256 s[4:11], s[0:1], 0x20
	s_ashr_i32 s23, s22, 31
	v_mbcnt_lo_u32_b32 v5, -1, 0
	s_lshl_b64 s[20:21], s[22:23], 2
	s_load_b32 s15, s[0:1], 0x0
	v_dual_mov_b32 v2, 0 :: v_dual_and_b32 v3, 31, v0
	s_delay_alu instid0(VALU_DEP_2)
	v_xor_b32_e32 v6, 16, v5
	v_xor_b32_e32 v7, 8, v5
	;; [unrolled: 1-line block ×5, first 2 shown]
	v_cmp_gt_i32_e32 vcc_lo, 32, v6
	v_mul_lo_u32 v0, s16, v1
	v_mul_lo_u32 v11, s16, v3
	s_mov_b32 s17, 0
	s_mul_i32 s27, s22, s16
	v_cndmask_b32_e32 v6, v5, v6, vcc_lo
	v_cmp_gt_i32_e32 vcc_lo, 32, v7
	v_mov_b32_e32 v4, v2
	s_wait_kmcnt 0x0
	s_add_nc_u64 s[24:25], s[4:5], s[20:21]
	s_load_b32 s13, s[24:25], 0x0
	s_clause 0x1
	s_load_b64 s[4:5], s[0:1], 0x58
	s_load_b64 s[18:19], s[0:1], 0x48
	s_add_nc_u64 s[0:1], s[6:7], s[20:21]
	s_add_nc_u64 s[24:25], s[24:25], 4
	v_cndmask_b32_e32 v7, v5, v7, vcc_lo
	v_cmp_gt_i32_e32 vcc_lo, 32, v8
	s_wait_alu 0xfffd
	s_delay_alu instid0(VALU_DEP_2)
	v_dual_cndmask_b32 v8, v5, v8 :: v_dual_lshlrev_b32 v13, 2, v7
	v_cmp_gt_i32_e32 vcc_lo, 32, v9
	s_wait_alu 0xfffd
	v_dual_cndmask_b32 v9, v5, v9 :: v_dual_lshlrev_b32 v12, 2, v6
	v_cmp_gt_i32_e32 vcc_lo, 32, v10
	s_wait_kmcnt 0x0
	s_sub_co_i32 s20, s13, s2
	s_cmp_eq_u64 s[6:7], 0
	v_lshlrev_b32_e32 v15, 2, v9
	s_cselect_b32 s25, s25, s1
	s_cselect_b32 s24, s24, s0
	s_wait_alu 0xfffd
	v_dual_cndmask_b32 v5, v5, v10 :: v_dual_lshlrev_b32 v14, 2, v8
	s_load_b32 s21, s[24:25], 0x0
	v_cmp_gt_u32_e64 s0, s16, v3
	v_cmp_eq_u32_e64 s1, 31, v3
	s_delay_alu instid0(VALU_DEP_3)
	v_lshlrev_b32_e32 v16, 2, v5
	s_mul_u64 s[6:7], s[16:17], s[16:17]
	s_wait_kmcnt 0x0
	s_sub_co_i32 s3, s21, s2
	s_cmp_lt_i32 s13, s21
	s_cselect_b32 s13, -1, 0
	s_cmp_lg_u32 s15, 0
	s_cselect_b32 s15, -1, 0
	s_cmp_eq_f32 s14, 0
	s_cselect_b32 s26, -1, 0
	s_ashr_i32 s21, s20, 31
	s_delay_alu instid0(SALU_CYCLE_1)
	s_mul_u64 s[22:23], s[20:21], s[6:7]
	s_lshl_b32 s21, s16, 5
	s_branch .LBB2_11
.LBB2_10:                               ;   in Loop: Header=BB2_11 Depth=1
	s_wait_alu 0xfffe
	s_or_b32 exec_lo, exec_lo, s24
	v_add_nc_u32_e32 v1, 32, v1
	v_add_nc_u32_e32 v0, s21, v0
	s_delay_alu instid0(VALU_DEP_2)
	v_cmp_le_i32_e32 vcc_lo, s16, v1
	s_or_b32 s17, vcc_lo, s17
	s_wait_alu 0xfffe
	s_and_not1_b32 exec_lo, exec_lo, s17
	s_cbranch_execz .LBB2_27
.LBB2_11:                               ; =>This Loop Header: Depth=1
                                        ;     Child Loop BB2_15 Depth 2
                                        ;       Child Loop BB2_18 Depth 3
	v_mov_b32_e32 v17, 0
	s_and_not1_b32 vcc_lo, exec_lo, s13
	s_wait_alu 0xfffe
	s_cbranch_vccnz .LBB2_22
; %bb.12:                               ;   in Loop: Header=BB2_11 Depth=1
	v_ashrrev_i32_e32 v5, 31, v0
	v_add_co_u32 v18, vcc_lo, s22, v0
	v_mov_b32_e32 v17, 0
	s_mov_b32 s24, s20
	s_wait_alu 0xfffd
	v_add_co_ci_u32_e64 v19, null, s23, v5, vcc_lo
	s_branch .LBB2_15
.LBB2_13:                               ;   in Loop: Header=BB2_15 Depth=2
	s_or_b32 exec_lo, exec_lo, s25
.LBB2_14:                               ;   in Loop: Header=BB2_15 Depth=2
	s_wait_alu 0xfffe
	s_or_b32 exec_lo, exec_lo, s28
	v_add_co_u32 v18, vcc_lo, v18, s6
	s_wait_alu 0xfffd
	v_add_co_ci_u32_e64 v19, null, s7, v19, vcc_lo
	s_add_co_i32 s24, s24, 1
	s_wait_alu 0xfffe
	s_cmp_ge_i32 s24, s3
	s_cbranch_scc1 .LBB2_22
.LBB2_15:                               ;   Parent Loop BB2_11 Depth=1
                                        ; =>  This Loop Header: Depth=2
                                        ;       Child Loop BB2_18 Depth 3
	s_and_saveexec_b32 s28, s0
	s_cbranch_execz .LBB2_14
; %bb.16:                               ;   in Loop: Header=BB2_15 Depth=2
	s_wait_alu 0xfffe
	s_ashr_i32 s25, s24, 31
	s_wait_dscnt 0x0
	v_mad_co_u64_u32 v[5:6], null, s6, s24, v[1:2]
	s_wait_alu 0xfffe
	s_lshl_b64 s[30:31], s[24:25], 2
	s_mul_i32 s25, s6, s25
	s_wait_alu 0xfffe
	s_add_nc_u64 s[30:31], s[8:9], s[30:31]
	v_mov_b32_e32 v8, v4
	s_load_b32 s29, s[30:31], 0x0
	s_mul_i32 s30, s7, s24
	v_dual_mov_b32 v20, v11 :: v_dual_mov_b32 v7, v3
	s_wait_alu 0xfffe
	v_add3_u32 v6, s25, s30, v6
	s_wait_kmcnt 0x0
	s_sub_co_i32 s25, s29, s2
	s_wait_alu 0xfffe
	s_mul_i32 s29, s25, s16
	s_mov_b32 s25, 0
	s_branch .LBB2_18
.LBB2_17:                               ;   in Loop: Header=BB2_18 Depth=3
	v_add_nc_u32_e32 v21, s29, v7
	s_delay_alu instid0(VALU_DEP_2) | instskip(SKIP_1) | instid1(VALU_DEP_3)
	v_lshlrev_b64_e32 v[9:10], 2, v[9:10]
	v_add_nc_u32_e32 v20, s21, v20
	v_ashrrev_i32_e32 v22, 31, v21
	s_delay_alu instid0(VALU_DEP_3) | instskip(SKIP_1) | instid1(VALU_DEP_4)
	v_add_co_u32 v9, vcc_lo, s10, v9
	s_wait_alu 0xfffd
	v_add_co_ci_u32_e64 v10, null, s11, v10, vcc_lo
	s_delay_alu instid0(VALU_DEP_3) | instskip(NEXT) | instid1(VALU_DEP_1)
	v_lshlrev_b64_e32 v[21:22], 2, v[21:22]
	v_add_co_u32 v21, vcc_lo, s18, v21
	s_wait_alu 0xfffd
	s_delay_alu instid0(VALU_DEP_2)
	v_add_co_ci_u32_e64 v22, null, s19, v22, vcc_lo
	global_load_b32 v9, v[9:10], off
	global_load_b32 v10, v[21:22], off
	v_add_co_u32 v7, vcc_lo, v7, 32
	s_wait_alu 0xfffd
	v_add_co_ci_u32_e64 v8, null, 0, v8, vcc_lo
	s_delay_alu instid0(VALU_DEP_2)
	v_cmp_le_i32_e32 vcc_lo, s16, v7
	s_or_b32 s25, vcc_lo, s25
	s_wait_loadcnt 0x0
	v_fmac_f32_e32 v17, v9, v10
	s_wait_alu 0xfffe
	s_and_not1_b32 exec_lo, exec_lo, s25
	s_cbranch_execz .LBB2_13
.LBB2_18:                               ;   Parent Loop BB2_11 Depth=1
                                        ;     Parent Loop BB2_15 Depth=2
                                        ; =>    This Inner Loop Header: Depth=3
	s_and_b32 vcc_lo, exec_lo, s15
	s_wait_alu 0xfffe
	s_cbranch_vccz .LBB2_20
; %bb.19:                               ;   in Loop: Header=BB2_18 Depth=3
	v_ashrrev_i32_e32 v10, 31, v20
	v_add_co_u32 v9, vcc_lo, v5, v20
	s_wait_alu 0xfffd
	s_delay_alu instid0(VALU_DEP_2)
	v_add_co_ci_u32_e64 v10, null, v6, v10, vcc_lo
	s_cbranch_execnz .LBB2_17
	s_branch .LBB2_21
.LBB2_20:                               ;   in Loop: Header=BB2_18 Depth=3
                                        ; implicit-def: $vgpr9_vgpr10
.LBB2_21:                               ;   in Loop: Header=BB2_18 Depth=3
	v_add_co_u32 v9, vcc_lo, v18, v7
	s_wait_alu 0xfffd
	v_add_co_ci_u32_e64 v10, null, v19, v8, vcc_lo
	s_branch .LBB2_17
.LBB2_22:                               ;   in Loop: Header=BB2_11 Depth=1
	ds_bpermute_b32 v5, v12, v17
	s_wait_dscnt 0x0
	v_add_f32_e32 v5, v17, v5
	ds_bpermute_b32 v6, v13, v5
	s_wait_dscnt 0x0
	v_add_f32_e32 v5, v5, v6
	;; [unrolled: 3-line block ×4, first 2 shown]
	ds_bpermute_b32 v6, v16, v5
	s_and_saveexec_b32 s24, s1
	s_cbranch_execz .LBB2_10
; %bb.23:                               ;   in Loop: Header=BB2_11 Depth=1
	s_wait_dscnt 0x0
	v_dual_add_f32 v6, v5, v6 :: v_dual_add_nc_u32 v5, s27, v1
	s_and_b32 vcc_lo, exec_lo, s26
	s_delay_alu instid0(VALU_DEP_1) | instskip(NEXT) | instid1(VALU_DEP_2)
	v_mul_f32_e32 v7, s12, v6
	v_ashrrev_i32_e32 v6, 31, v5
	s_wait_alu 0xfffe
	s_cbranch_vccz .LBB2_25
; %bb.24:                               ;   in Loop: Header=BB2_11 Depth=1
	s_delay_alu instid0(VALU_DEP_1) | instskip(NEXT) | instid1(VALU_DEP_1)
	v_lshlrev_b64_e32 v[8:9], 2, v[5:6]
	v_add_co_u32 v8, vcc_lo, s4, v8
	s_wait_alu 0xfffd
	s_delay_alu instid0(VALU_DEP_2)
	v_add_co_ci_u32_e64 v9, null, s5, v9, vcc_lo
	global_store_b32 v[8:9], v7, off
	s_cbranch_execnz .LBB2_10
	s_branch .LBB2_26
.LBB2_25:                               ;   in Loop: Header=BB2_11 Depth=1
.LBB2_26:                               ;   in Loop: Header=BB2_11 Depth=1
	s_delay_alu instid0(VALU_DEP_1) | instskip(NEXT) | instid1(VALU_DEP_1)
	v_lshlrev_b64_e32 v[5:6], 2, v[5:6]
	v_add_co_u32 v5, vcc_lo, s4, v5
	s_wait_alu 0xfffd
	s_delay_alu instid0(VALU_DEP_2)
	v_add_co_ci_u32_e64 v6, null, s5, v6, vcc_lo
	global_load_b32 v8, v[5:6], off
	s_wait_loadcnt 0x0
	v_fmac_f32_e32 v7, s14, v8
	global_store_b32 v[5:6], v7, off
	s_branch .LBB2_10
.LBB2_27:
	s_endpgm
	.section	.rodata,"a",@progbits
	.p2align	6, 0x0
	.amdhsa_kernel _ZN9rocsparseL22bsrxmvn_general_kernelILj1024ELj32EfiifffEEv20rocsparse_direction_NS_24const_host_device_scalarIT1_EET3_PKS5_PKT2_SA_S7_PKT4_S5_PKT5_S4_PT6_21rocsparse_index_base_b
		.amdhsa_group_segment_fixed_size 0
		.amdhsa_private_segment_fixed_size 0
		.amdhsa_kernarg_size 104
		.amdhsa_user_sgpr_count 2
		.amdhsa_user_sgpr_dispatch_ptr 0
		.amdhsa_user_sgpr_queue_ptr 0
		.amdhsa_user_sgpr_kernarg_segment_ptr 1
		.amdhsa_user_sgpr_dispatch_id 0
		.amdhsa_user_sgpr_private_segment_size 0
		.amdhsa_wavefront_size32 1
		.amdhsa_uses_dynamic_stack 0
		.amdhsa_enable_private_segment 0
		.amdhsa_system_sgpr_workgroup_id_x 1
		.amdhsa_system_sgpr_workgroup_id_y 0
		.amdhsa_system_sgpr_workgroup_id_z 0
		.amdhsa_system_sgpr_workgroup_info 0
		.amdhsa_system_vgpr_workitem_id 0
		.amdhsa_next_free_vgpr 23
		.amdhsa_next_free_sgpr 32
		.amdhsa_reserve_vcc 1
		.amdhsa_float_round_mode_32 0
		.amdhsa_float_round_mode_16_64 0
		.amdhsa_float_denorm_mode_32 3
		.amdhsa_float_denorm_mode_16_64 3
		.amdhsa_fp16_overflow 0
		.amdhsa_workgroup_processor_mode 1
		.amdhsa_memory_ordered 1
		.amdhsa_forward_progress 1
		.amdhsa_inst_pref_size 10
		.amdhsa_round_robin_scheduling 0
		.amdhsa_exception_fp_ieee_invalid_op 0
		.amdhsa_exception_fp_denorm_src 0
		.amdhsa_exception_fp_ieee_div_zero 0
		.amdhsa_exception_fp_ieee_overflow 0
		.amdhsa_exception_fp_ieee_underflow 0
		.amdhsa_exception_fp_ieee_inexact 0
		.amdhsa_exception_int_div_zero 0
	.end_amdhsa_kernel
	.section	.text._ZN9rocsparseL22bsrxmvn_general_kernelILj1024ELj32EfiifffEEv20rocsparse_direction_NS_24const_host_device_scalarIT1_EET3_PKS5_PKT2_SA_S7_PKT4_S5_PKT5_S4_PT6_21rocsparse_index_base_b,"axG",@progbits,_ZN9rocsparseL22bsrxmvn_general_kernelILj1024ELj32EfiifffEEv20rocsparse_direction_NS_24const_host_device_scalarIT1_EET3_PKS5_PKT2_SA_S7_PKT4_S5_PKT5_S4_PT6_21rocsparse_index_base_b,comdat
.Lfunc_end2:
	.size	_ZN9rocsparseL22bsrxmvn_general_kernelILj1024ELj32EfiifffEEv20rocsparse_direction_NS_24const_host_device_scalarIT1_EET3_PKS5_PKT2_SA_S7_PKT4_S5_PKT5_S4_PT6_21rocsparse_index_base_b, .Lfunc_end2-_ZN9rocsparseL22bsrxmvn_general_kernelILj1024ELj32EfiifffEEv20rocsparse_direction_NS_24const_host_device_scalarIT1_EET3_PKS5_PKT2_SA_S7_PKT4_S5_PKT5_S4_PT6_21rocsparse_index_base_b
                                        ; -- End function
	.set _ZN9rocsparseL22bsrxmvn_general_kernelILj1024ELj32EfiifffEEv20rocsparse_direction_NS_24const_host_device_scalarIT1_EET3_PKS5_PKT2_SA_S7_PKT4_S5_PKT5_S4_PT6_21rocsparse_index_base_b.num_vgpr, 23
	.set _ZN9rocsparseL22bsrxmvn_general_kernelILj1024ELj32EfiifffEEv20rocsparse_direction_NS_24const_host_device_scalarIT1_EET3_PKS5_PKT2_SA_S7_PKT4_S5_PKT5_S4_PT6_21rocsparse_index_base_b.num_agpr, 0
	.set _ZN9rocsparseL22bsrxmvn_general_kernelILj1024ELj32EfiifffEEv20rocsparse_direction_NS_24const_host_device_scalarIT1_EET3_PKS5_PKT2_SA_S7_PKT4_S5_PKT5_S4_PT6_21rocsparse_index_base_b.numbered_sgpr, 32
	.set _ZN9rocsparseL22bsrxmvn_general_kernelILj1024ELj32EfiifffEEv20rocsparse_direction_NS_24const_host_device_scalarIT1_EET3_PKS5_PKT2_SA_S7_PKT4_S5_PKT5_S4_PT6_21rocsparse_index_base_b.num_named_barrier, 0
	.set _ZN9rocsparseL22bsrxmvn_general_kernelILj1024ELj32EfiifffEEv20rocsparse_direction_NS_24const_host_device_scalarIT1_EET3_PKS5_PKT2_SA_S7_PKT4_S5_PKT5_S4_PT6_21rocsparse_index_base_b.private_seg_size, 0
	.set _ZN9rocsparseL22bsrxmvn_general_kernelILj1024ELj32EfiifffEEv20rocsparse_direction_NS_24const_host_device_scalarIT1_EET3_PKS5_PKT2_SA_S7_PKT4_S5_PKT5_S4_PT6_21rocsparse_index_base_b.uses_vcc, 1
	.set _ZN9rocsparseL22bsrxmvn_general_kernelILj1024ELj32EfiifffEEv20rocsparse_direction_NS_24const_host_device_scalarIT1_EET3_PKS5_PKT2_SA_S7_PKT4_S5_PKT5_S4_PT6_21rocsparse_index_base_b.uses_flat_scratch, 0
	.set _ZN9rocsparseL22bsrxmvn_general_kernelILj1024ELj32EfiifffEEv20rocsparse_direction_NS_24const_host_device_scalarIT1_EET3_PKS5_PKT2_SA_S7_PKT4_S5_PKT5_S4_PT6_21rocsparse_index_base_b.has_dyn_sized_stack, 0
	.set _ZN9rocsparseL22bsrxmvn_general_kernelILj1024ELj32EfiifffEEv20rocsparse_direction_NS_24const_host_device_scalarIT1_EET3_PKS5_PKT2_SA_S7_PKT4_S5_PKT5_S4_PT6_21rocsparse_index_base_b.has_recursion, 0
	.set _ZN9rocsparseL22bsrxmvn_general_kernelILj1024ELj32EfiifffEEv20rocsparse_direction_NS_24const_host_device_scalarIT1_EET3_PKS5_PKT2_SA_S7_PKT4_S5_PKT5_S4_PT6_21rocsparse_index_base_b.has_indirect_call, 0
	.section	.AMDGPU.csdata,"",@progbits
; Kernel info:
; codeLenInByte = 1244
; TotalNumSgprs: 34
; NumVgprs: 23
; ScratchSize: 0
; MemoryBound: 0
; FloatMode: 240
; IeeeMode: 1
; LDSByteSize: 0 bytes/workgroup (compile time only)
; SGPRBlocks: 0
; VGPRBlocks: 2
; NumSGPRsForWavesPerEU: 34
; NumVGPRsForWavesPerEU: 23
; Occupancy: 16
; WaveLimiterHint : 1
; COMPUTE_PGM_RSRC2:SCRATCH_EN: 0
; COMPUTE_PGM_RSRC2:USER_SGPR: 2
; COMPUTE_PGM_RSRC2:TRAP_HANDLER: 0
; COMPUTE_PGM_RSRC2:TGID_X_EN: 1
; COMPUTE_PGM_RSRC2:TGID_Y_EN: 0
; COMPUTE_PGM_RSRC2:TGID_Z_EN: 0
; COMPUTE_PGM_RSRC2:TIDIG_COMP_CNT: 0
	.section	.text._ZN9rocsparseL22bsrxmvn_general_kernelILj64ELj8EdiidddEEv20rocsparse_direction_NS_24const_host_device_scalarIT1_EET3_PKS5_PKT2_SA_S7_PKT4_S5_PKT5_S4_PT6_21rocsparse_index_base_b,"axG",@progbits,_ZN9rocsparseL22bsrxmvn_general_kernelILj64ELj8EdiidddEEv20rocsparse_direction_NS_24const_host_device_scalarIT1_EET3_PKS5_PKT2_SA_S7_PKT4_S5_PKT5_S4_PT6_21rocsparse_index_base_b,comdat
	.globl	_ZN9rocsparseL22bsrxmvn_general_kernelILj64ELj8EdiidddEEv20rocsparse_direction_NS_24const_host_device_scalarIT1_EET3_PKS5_PKT2_SA_S7_PKT4_S5_PKT5_S4_PT6_21rocsparse_index_base_b ; -- Begin function _ZN9rocsparseL22bsrxmvn_general_kernelILj64ELj8EdiidddEEv20rocsparse_direction_NS_24const_host_device_scalarIT1_EET3_PKS5_PKT2_SA_S7_PKT4_S5_PKT5_S4_PT6_21rocsparse_index_base_b
	.p2align	8
	.type	_ZN9rocsparseL22bsrxmvn_general_kernelILj64ELj8EdiidddEEv20rocsparse_direction_NS_24const_host_device_scalarIT1_EET3_PKS5_PKT2_SA_S7_PKT4_S5_PKT5_S4_PT6_21rocsparse_index_base_b,@function
_ZN9rocsparseL22bsrxmvn_general_kernelILj64ELj8EdiidddEEv20rocsparse_direction_NS_24const_host_device_scalarIT1_EET3_PKS5_PKT2_SA_S7_PKT4_S5_PKT5_S4_PT6_21rocsparse_index_base_b: ; @_ZN9rocsparseL22bsrxmvn_general_kernelILj64ELj8EdiidddEEv20rocsparse_direction_NS_24const_host_device_scalarIT1_EET3_PKS5_PKT2_SA_S7_PKT4_S5_PKT5_S4_PT6_21rocsparse_index_base_b
; %bb.0:
	s_clause 0x2
	s_load_b64 s[12:13], s[0:1], 0x60
	s_load_b64 s[4:5], s[0:1], 0x8
	;; [unrolled: 1-line block ×3, first 2 shown]
	s_wait_kmcnt 0x0
	s_bitcmp1_b32 s13, 0
	v_dual_mov_b32 v1, s4 :: v_dual_mov_b32 v2, s5
	s_cselect_b32 s6, -1, 0
	s_delay_alu instid0(SALU_CYCLE_1)
	s_and_b32 vcc_lo, exec_lo, s6
	s_xor_b32 s6, s6, -1
	s_cbranch_vccnz .LBB3_2
; %bb.1:
	v_dual_mov_b32 v1, s4 :: v_dual_mov_b32 v2, s5
	flat_load_b64 v[1:2], v[1:2]
.LBB3_2:
	v_dual_mov_b32 v4, s3 :: v_dual_mov_b32 v3, s2
	s_and_not1_b32 vcc_lo, exec_lo, s6
	s_cbranch_vccnz .LBB3_4
; %bb.3:
	v_dual_mov_b32 v4, s3 :: v_dual_mov_b32 v3, s2
	flat_load_b64 v[3:4], v[3:4]
.LBB3_4:
	s_wait_loadcnt_dscnt 0x0
	v_cmp_neq_f64_e32 vcc_lo, 0, v[1:2]
	v_cmp_neq_f64_e64 s2, 1.0, v[3:4]
	s_or_b32 s2, vcc_lo, s2
	s_wait_alu 0xfffe
	s_and_saveexec_b32 s3, s2
	s_cbranch_execz .LBB3_27
; %bb.5:
	s_load_b64 s[2:3], s[0:1], 0x18
	s_wait_kmcnt 0x0
	s_cmp_eq_u64 s[2:3], 0
	s_cbranch_scc1 .LBB3_7
; %bb.6:
	s_mov_b32 s4, ttmp9
	s_ashr_i32 s5, ttmp9, 31
	s_wait_alu 0xfffe
	s_lshl_b64 s[4:5], s[4:5], 2
	s_wait_alu 0xfffe
	s_add_nc_u64 s[2:3], s[2:3], s[4:5]
	s_load_b32 s2, s[2:3], 0x0
	s_wait_kmcnt 0x0
	s_sub_co_i32 s20, s2, s12
	s_branch .LBB3_8
.LBB3_7:
	s_mov_b32 s20, ttmp9
.LBB3_8:
	s_load_b32 s14, s[0:1], 0x40
	v_lshrrev_b32_e32 v5, 3, v0
	s_wait_kmcnt 0x0
	s_delay_alu instid0(VALU_DEP_1)
	v_cmp_gt_i32_e32 vcc_lo, s14, v5
	s_and_b32 exec_lo, exec_lo, vcc_lo
	s_cbranch_execz .LBB3_27
; %bb.9:
	s_load_b256 s[4:11], s[0:1], 0x20
	s_ashr_i32 s21, s20, 31
	v_cmp_eq_f64_e64 s2, 0, v[3:4]
	s_lshl_b64 s[18:19], s[20:21], 2
	v_mbcnt_lo_u32_b32 v9, -1, 0
	v_dual_mov_b32 v6, 0 :: v_dual_and_b32 v7, 7, v0
	v_mul_lo_u32 v0, s14, v5
	s_mov_b32 s15, 0
	s_delay_alu instid0(VALU_DEP_3) | instskip(SKIP_3) | instid1(VALU_DEP_4)
	v_xor_b32_e32 v10, 4, v9
	v_xor_b32_e32 v11, 2, v9
	;; [unrolled: 1-line block ×3, first 2 shown]
	v_mul_lo_u32 v17, s14, v7
	v_cmp_gt_i32_e32 vcc_lo, 32, v10
	v_cndmask_b32_e32 v10, v9, v10, vcc_lo
	s_wait_kmcnt 0x0
	s_add_nc_u64 s[22:23], s[4:5], s[18:19]
	s_add_nc_u64 s[24:25], s[6:7], s[18:19]
	s_load_b32 s13, s[22:23], 0x0
	s_clause 0x1
	s_load_b64 s[4:5], s[0:1], 0x58
	s_load_b64 s[16:17], s[0:1], 0x48
	s_add_nc_u64 s[22:23], s[22:23], 4
	s_load_b32 s19, s[0:1], 0x0
	v_cmp_gt_i32_e32 vcc_lo, 32, v11
	s_wait_alu 0xfffd
	v_dual_mov_b32 v8, v6 :: v_dual_cndmask_b32 v11, v9, v11
	v_cmp_gt_i32_e32 vcc_lo, 32, v12
	s_delay_alu instid0(VALU_DEP_2)
	v_lshlrev_b32_e32 v19, 2, v11
	s_wait_alu 0xfffd
	v_dual_cndmask_b32 v9, v9, v12 :: v_dual_lshlrev_b32 v18, 2, v10
	s_wait_kmcnt 0x0
	s_sub_co_i32 s18, s13, s12
	s_cmp_eq_u64 s[6:7], 0
	s_delay_alu instid0(VALU_DEP_1)
	v_lshlrev_b32_e32 v20, 2, v9
	s_cselect_b32 s1, s23, s25
	s_cselect_b32 s0, s22, s24
	s_mul_u64 s[6:7], s[14:15], s[14:15]
	s_load_b32 s21, s[0:1], 0x0
	v_cmp_gt_u32_e64 s0, s14, v7
	v_cmp_eq_u32_e64 s1, 7, v7
	s_mul_i32 s25, s20, s14
	s_wait_kmcnt 0x0
	s_sub_co_i32 s3, s21, s12
	s_cmp_lt_i32 s13, s21
	s_cselect_b32 s13, -1, 0
	s_cmp_lg_u32 s19, 0
	s_cselect_b32 s24, -1, 0
	s_ashr_i32 s19, s18, 31
	s_delay_alu instid0(SALU_CYCLE_1)
	s_mul_u64 s[20:21], s[18:19], s[6:7]
	s_lshl_b32 s19, s14, 3
	s_branch .LBB3_11
.LBB3_10:                               ;   in Loop: Header=BB3_11 Depth=1
	s_wait_alu 0xfffe
	s_or_b32 exec_lo, exec_lo, s22
	v_add_nc_u32_e32 v5, 8, v5
	v_add_nc_u32_e32 v0, s19, v0
	s_delay_alu instid0(VALU_DEP_2)
	v_cmp_le_i32_e32 vcc_lo, s14, v5
	s_or_b32 s15, vcc_lo, s15
	s_wait_alu 0xfffe
	s_and_not1_b32 exec_lo, exec_lo, s15
	s_cbranch_execz .LBB3_27
.LBB3_11:                               ; =>This Loop Header: Depth=1
                                        ;     Child Loop BB3_15 Depth 2
                                        ;       Child Loop BB3_18 Depth 3
	v_mov_b32_e32 v9, 0
	v_mov_b32_e32 v10, 0
	s_and_not1_b32 vcc_lo, exec_lo, s13
	s_wait_alu 0xfffe
	s_cbranch_vccnz .LBB3_22
; %bb.12:                               ;   in Loop: Header=BB3_11 Depth=1
	s_wait_dscnt 0x1
	v_ashrrev_i32_e32 v11, 31, v0
	v_add_co_u32 v21, vcc_lo, s20, v0
	v_mov_b32_e32 v9, 0
	v_mov_b32_e32 v10, 0
	s_wait_alu 0xfffd
	v_add_co_ci_u32_e64 v22, null, s21, v11, vcc_lo
	s_mov_b32 s22, s18
	s_branch .LBB3_15
.LBB3_13:                               ;   in Loop: Header=BB3_15 Depth=2
	s_or_b32 exec_lo, exec_lo, s23
.LBB3_14:                               ;   in Loop: Header=BB3_15 Depth=2
	s_wait_alu 0xfffe
	s_or_b32 exec_lo, exec_lo, s26
	v_add_co_u32 v21, vcc_lo, v21, s6
	s_wait_alu 0xfffd
	v_add_co_ci_u32_e64 v22, null, s7, v22, vcc_lo
	s_add_co_i32 s22, s22, 1
	s_wait_alu 0xfffe
	s_cmp_ge_i32 s22, s3
	s_cbranch_scc1 .LBB3_22
.LBB3_15:                               ;   Parent Loop BB3_11 Depth=1
                                        ; =>  This Loop Header: Depth=2
                                        ;       Child Loop BB3_18 Depth 3
	s_and_saveexec_b32 s26, s0
	s_cbranch_execz .LBB3_14
; %bb.16:                               ;   in Loop: Header=BB3_15 Depth=2
	s_wait_alu 0xfffe
	s_ashr_i32 s23, s22, 31
	s_wait_dscnt 0x0
	v_mad_co_u64_u32 v[11:12], null, s6, s22, v[5:6]
	s_wait_alu 0xfffe
	s_lshl_b64 s[28:29], s[22:23], 2
	s_mul_i32 s23, s6, s23
	s_wait_alu 0xfffe
	s_add_nc_u64 s[28:29], s[8:9], s[28:29]
	v_dual_mov_b32 v23, v17 :: v_dual_mov_b32 v14, v8
	s_load_b32 s27, s[28:29], 0x0
	s_mul_i32 s28, s7, s22
	v_mov_b32_e32 v13, v7
	s_wait_alu 0xfffe
	v_add3_u32 v12, s23, s28, v12
	s_wait_kmcnt 0x0
	s_sub_co_i32 s23, s27, s12
	s_wait_alu 0xfffe
	s_mul_i32 s27, s23, s14
	s_mov_b32 s23, 0
	s_branch .LBB3_18
.LBB3_17:                               ;   in Loop: Header=BB3_18 Depth=3
	v_add_nc_u32_e32 v24, s27, v13
	s_delay_alu instid0(VALU_DEP_2) | instskip(SKIP_1) | instid1(VALU_DEP_3)
	v_lshlrev_b64_e32 v[15:16], 3, v[15:16]
	v_add_nc_u32_e32 v23, s19, v23
	v_ashrrev_i32_e32 v25, 31, v24
	s_delay_alu instid0(VALU_DEP_3) | instskip(SKIP_1) | instid1(VALU_DEP_4)
	v_add_co_u32 v15, vcc_lo, s10, v15
	s_wait_alu 0xfffd
	v_add_co_ci_u32_e64 v16, null, s11, v16, vcc_lo
	s_delay_alu instid0(VALU_DEP_3) | instskip(NEXT) | instid1(VALU_DEP_1)
	v_lshlrev_b64_e32 v[24:25], 3, v[24:25]
	v_add_co_u32 v24, vcc_lo, s16, v24
	s_wait_alu 0xfffd
	s_delay_alu instid0(VALU_DEP_2)
	v_add_co_ci_u32_e64 v25, null, s17, v25, vcc_lo
	v_add_co_u32 v13, vcc_lo, v13, 8
	global_load_b64 v[15:16], v[15:16], off
	global_load_b64 v[24:25], v[24:25], off
	s_wait_alu 0xfffd
	v_add_co_ci_u32_e64 v14, null, 0, v14, vcc_lo
	v_cmp_le_i32_e32 vcc_lo, s14, v13
	s_or_b32 s23, vcc_lo, s23
	s_wait_loadcnt 0x0
	v_fma_f64 v[9:10], v[15:16], v[24:25], v[9:10]
	s_wait_alu 0xfffe
	s_and_not1_b32 exec_lo, exec_lo, s23
	s_cbranch_execz .LBB3_13
.LBB3_18:                               ;   Parent Loop BB3_11 Depth=1
                                        ;     Parent Loop BB3_15 Depth=2
                                        ; =>    This Inner Loop Header: Depth=3
	s_and_b32 vcc_lo, exec_lo, s24
	s_wait_alu 0xfffe
	s_cbranch_vccz .LBB3_20
; %bb.19:                               ;   in Loop: Header=BB3_18 Depth=3
	v_ashrrev_i32_e32 v16, 31, v23
	v_add_co_u32 v15, vcc_lo, v11, v23
	s_wait_alu 0xfffd
	s_delay_alu instid0(VALU_DEP_2)
	v_add_co_ci_u32_e64 v16, null, v12, v16, vcc_lo
	s_cbranch_execnz .LBB3_17
	s_branch .LBB3_21
.LBB3_20:                               ;   in Loop: Header=BB3_18 Depth=3
                                        ; implicit-def: $vgpr15_vgpr16
.LBB3_21:                               ;   in Loop: Header=BB3_18 Depth=3
	v_add_co_u32 v15, vcc_lo, v21, v13
	s_wait_alu 0xfffd
	v_add_co_ci_u32_e64 v16, null, v22, v14, vcc_lo
	s_branch .LBB3_17
.LBB3_22:                               ;   in Loop: Header=BB3_11 Depth=1
	s_wait_dscnt 0x1
	ds_bpermute_b32 v11, v18, v9
	s_wait_dscnt 0x1
	ds_bpermute_b32 v12, v18, v10
	s_wait_dscnt 0x0
	v_add_f64_e32 v[9:10], v[9:10], v[11:12]
	ds_bpermute_b32 v11, v19, v9
	ds_bpermute_b32 v12, v19, v10
	s_wait_dscnt 0x0
	v_add_f64_e32 v[9:10], v[9:10], v[11:12]
	ds_bpermute_b32 v11, v20, v9
	ds_bpermute_b32 v12, v20, v10
	s_and_saveexec_b32 s22, s1
	s_cbranch_execz .LBB3_10
; %bb.23:                               ;   in Loop: Header=BB3_11 Depth=1
	s_wait_dscnt 0x0
	v_add_f64_e32 v[9:10], v[9:10], v[11:12]
	v_add_nc_u32_e32 v11, s25, v5
	s_delay_alu instid0(VALU_DEP_1) | instskip(NEXT) | instid1(VALU_DEP_3)
	v_ashrrev_i32_e32 v12, 31, v11
	v_mul_f64_e32 v[9:10], v[1:2], v[9:10]
	s_and_saveexec_b32 s23, s2
	s_wait_alu 0xfffe
	s_xor_b32 s23, exec_lo, s23
	s_cbranch_execz .LBB3_25
; %bb.24:                               ;   in Loop: Header=BB3_11 Depth=1
	v_lshlrev_b64_e32 v[11:12], 3, v[11:12]
	s_delay_alu instid0(VALU_DEP_1) | instskip(SKIP_1) | instid1(VALU_DEP_2)
	v_add_co_u32 v11, vcc_lo, s4, v11
	s_wait_alu 0xfffd
	v_add_co_ci_u32_e64 v12, null, s5, v12, vcc_lo
	global_store_b64 v[11:12], v[9:10], off
                                        ; implicit-def: $vgpr11
                                        ; implicit-def: $vgpr9_vgpr10
.LBB3_25:                               ;   in Loop: Header=BB3_11 Depth=1
	s_wait_alu 0xfffe
	s_and_not1_saveexec_b32 s23, s23
	s_cbranch_execz .LBB3_10
; %bb.26:                               ;   in Loop: Header=BB3_11 Depth=1
	v_lshlrev_b64_e32 v[11:12], 3, v[11:12]
	s_delay_alu instid0(VALU_DEP_1) | instskip(SKIP_1) | instid1(VALU_DEP_2)
	v_add_co_u32 v11, vcc_lo, s4, v11
	s_wait_alu 0xfffd
	v_add_co_ci_u32_e64 v12, null, s5, v12, vcc_lo
	global_load_b64 v[13:14], v[11:12], off
	s_wait_loadcnt 0x0
	v_fma_f64 v[9:10], v[3:4], v[13:14], v[9:10]
	global_store_b64 v[11:12], v[9:10], off
	s_branch .LBB3_10
.LBB3_27:
	s_endpgm
	.section	.rodata,"a",@progbits
	.p2align	6, 0x0
	.amdhsa_kernel _ZN9rocsparseL22bsrxmvn_general_kernelILj64ELj8EdiidddEEv20rocsparse_direction_NS_24const_host_device_scalarIT1_EET3_PKS5_PKT2_SA_S7_PKT4_S5_PKT5_S4_PT6_21rocsparse_index_base_b
		.amdhsa_group_segment_fixed_size 0
		.amdhsa_private_segment_fixed_size 0
		.amdhsa_kernarg_size 104
		.amdhsa_user_sgpr_count 2
		.amdhsa_user_sgpr_dispatch_ptr 0
		.amdhsa_user_sgpr_queue_ptr 0
		.amdhsa_user_sgpr_kernarg_segment_ptr 1
		.amdhsa_user_sgpr_dispatch_id 0
		.amdhsa_user_sgpr_private_segment_size 0
		.amdhsa_wavefront_size32 1
		.amdhsa_uses_dynamic_stack 0
		.amdhsa_enable_private_segment 0
		.amdhsa_system_sgpr_workgroup_id_x 1
		.amdhsa_system_sgpr_workgroup_id_y 0
		.amdhsa_system_sgpr_workgroup_id_z 0
		.amdhsa_system_sgpr_workgroup_info 0
		.amdhsa_system_vgpr_workitem_id 0
		.amdhsa_next_free_vgpr 26
		.amdhsa_next_free_sgpr 30
		.amdhsa_reserve_vcc 1
		.amdhsa_float_round_mode_32 0
		.amdhsa_float_round_mode_16_64 0
		.amdhsa_float_denorm_mode_32 3
		.amdhsa_float_denorm_mode_16_64 3
		.amdhsa_fp16_overflow 0
		.amdhsa_workgroup_processor_mode 1
		.amdhsa_memory_ordered 1
		.amdhsa_forward_progress 1
		.amdhsa_inst_pref_size 10
		.amdhsa_round_robin_scheduling 0
		.amdhsa_exception_fp_ieee_invalid_op 0
		.amdhsa_exception_fp_denorm_src 0
		.amdhsa_exception_fp_ieee_div_zero 0
		.amdhsa_exception_fp_ieee_overflow 0
		.amdhsa_exception_fp_ieee_underflow 0
		.amdhsa_exception_fp_ieee_inexact 0
		.amdhsa_exception_int_div_zero 0
	.end_amdhsa_kernel
	.section	.text._ZN9rocsparseL22bsrxmvn_general_kernelILj64ELj8EdiidddEEv20rocsparse_direction_NS_24const_host_device_scalarIT1_EET3_PKS5_PKT2_SA_S7_PKT4_S5_PKT5_S4_PT6_21rocsparse_index_base_b,"axG",@progbits,_ZN9rocsparseL22bsrxmvn_general_kernelILj64ELj8EdiidddEEv20rocsparse_direction_NS_24const_host_device_scalarIT1_EET3_PKS5_PKT2_SA_S7_PKT4_S5_PKT5_S4_PT6_21rocsparse_index_base_b,comdat
.Lfunc_end3:
	.size	_ZN9rocsparseL22bsrxmvn_general_kernelILj64ELj8EdiidddEEv20rocsparse_direction_NS_24const_host_device_scalarIT1_EET3_PKS5_PKT2_SA_S7_PKT4_S5_PKT5_S4_PT6_21rocsparse_index_base_b, .Lfunc_end3-_ZN9rocsparseL22bsrxmvn_general_kernelILj64ELj8EdiidddEEv20rocsparse_direction_NS_24const_host_device_scalarIT1_EET3_PKS5_PKT2_SA_S7_PKT4_S5_PKT5_S4_PT6_21rocsparse_index_base_b
                                        ; -- End function
	.set _ZN9rocsparseL22bsrxmvn_general_kernelILj64ELj8EdiidddEEv20rocsparse_direction_NS_24const_host_device_scalarIT1_EET3_PKS5_PKT2_SA_S7_PKT4_S5_PKT5_S4_PT6_21rocsparse_index_base_b.num_vgpr, 26
	.set _ZN9rocsparseL22bsrxmvn_general_kernelILj64ELj8EdiidddEEv20rocsparse_direction_NS_24const_host_device_scalarIT1_EET3_PKS5_PKT2_SA_S7_PKT4_S5_PKT5_S4_PT6_21rocsparse_index_base_b.num_agpr, 0
	.set _ZN9rocsparseL22bsrxmvn_general_kernelILj64ELj8EdiidddEEv20rocsparse_direction_NS_24const_host_device_scalarIT1_EET3_PKS5_PKT2_SA_S7_PKT4_S5_PKT5_S4_PT6_21rocsparse_index_base_b.numbered_sgpr, 30
	.set _ZN9rocsparseL22bsrxmvn_general_kernelILj64ELj8EdiidddEEv20rocsparse_direction_NS_24const_host_device_scalarIT1_EET3_PKS5_PKT2_SA_S7_PKT4_S5_PKT5_S4_PT6_21rocsparse_index_base_b.num_named_barrier, 0
	.set _ZN9rocsparseL22bsrxmvn_general_kernelILj64ELj8EdiidddEEv20rocsparse_direction_NS_24const_host_device_scalarIT1_EET3_PKS5_PKT2_SA_S7_PKT4_S5_PKT5_S4_PT6_21rocsparse_index_base_b.private_seg_size, 0
	.set _ZN9rocsparseL22bsrxmvn_general_kernelILj64ELj8EdiidddEEv20rocsparse_direction_NS_24const_host_device_scalarIT1_EET3_PKS5_PKT2_SA_S7_PKT4_S5_PKT5_S4_PT6_21rocsparse_index_base_b.uses_vcc, 1
	.set _ZN9rocsparseL22bsrxmvn_general_kernelILj64ELj8EdiidddEEv20rocsparse_direction_NS_24const_host_device_scalarIT1_EET3_PKS5_PKT2_SA_S7_PKT4_S5_PKT5_S4_PT6_21rocsparse_index_base_b.uses_flat_scratch, 0
	.set _ZN9rocsparseL22bsrxmvn_general_kernelILj64ELj8EdiidddEEv20rocsparse_direction_NS_24const_host_device_scalarIT1_EET3_PKS5_PKT2_SA_S7_PKT4_S5_PKT5_S4_PT6_21rocsparse_index_base_b.has_dyn_sized_stack, 0
	.set _ZN9rocsparseL22bsrxmvn_general_kernelILj64ELj8EdiidddEEv20rocsparse_direction_NS_24const_host_device_scalarIT1_EET3_PKS5_PKT2_SA_S7_PKT4_S5_PKT5_S4_PT6_21rocsparse_index_base_b.has_recursion, 0
	.set _ZN9rocsparseL22bsrxmvn_general_kernelILj64ELj8EdiidddEEv20rocsparse_direction_NS_24const_host_device_scalarIT1_EET3_PKS5_PKT2_SA_S7_PKT4_S5_PKT5_S4_PT6_21rocsparse_index_base_b.has_indirect_call, 0
	.section	.AMDGPU.csdata,"",@progbits
; Kernel info:
; codeLenInByte = 1260
; TotalNumSgprs: 32
; NumVgprs: 26
; ScratchSize: 0
; MemoryBound: 0
; FloatMode: 240
; IeeeMode: 1
; LDSByteSize: 0 bytes/workgroup (compile time only)
; SGPRBlocks: 0
; VGPRBlocks: 3
; NumSGPRsForWavesPerEU: 32
; NumVGPRsForWavesPerEU: 26
; Occupancy: 16
; WaveLimiterHint : 1
; COMPUTE_PGM_RSRC2:SCRATCH_EN: 0
; COMPUTE_PGM_RSRC2:USER_SGPR: 2
; COMPUTE_PGM_RSRC2:TRAP_HANDLER: 0
; COMPUTE_PGM_RSRC2:TGID_X_EN: 1
; COMPUTE_PGM_RSRC2:TGID_Y_EN: 0
; COMPUTE_PGM_RSRC2:TGID_Z_EN: 0
; COMPUTE_PGM_RSRC2:TIDIG_COMP_CNT: 0
	.section	.text._ZN9rocsparseL22bsrxmvn_general_kernelILj256ELj16EdiidddEEv20rocsparse_direction_NS_24const_host_device_scalarIT1_EET3_PKS5_PKT2_SA_S7_PKT4_S5_PKT5_S4_PT6_21rocsparse_index_base_b,"axG",@progbits,_ZN9rocsparseL22bsrxmvn_general_kernelILj256ELj16EdiidddEEv20rocsparse_direction_NS_24const_host_device_scalarIT1_EET3_PKS5_PKT2_SA_S7_PKT4_S5_PKT5_S4_PT6_21rocsparse_index_base_b,comdat
	.globl	_ZN9rocsparseL22bsrxmvn_general_kernelILj256ELj16EdiidddEEv20rocsparse_direction_NS_24const_host_device_scalarIT1_EET3_PKS5_PKT2_SA_S7_PKT4_S5_PKT5_S4_PT6_21rocsparse_index_base_b ; -- Begin function _ZN9rocsparseL22bsrxmvn_general_kernelILj256ELj16EdiidddEEv20rocsparse_direction_NS_24const_host_device_scalarIT1_EET3_PKS5_PKT2_SA_S7_PKT4_S5_PKT5_S4_PT6_21rocsparse_index_base_b
	.p2align	8
	.type	_ZN9rocsparseL22bsrxmvn_general_kernelILj256ELj16EdiidddEEv20rocsparse_direction_NS_24const_host_device_scalarIT1_EET3_PKS5_PKT2_SA_S7_PKT4_S5_PKT5_S4_PT6_21rocsparse_index_base_b,@function
_ZN9rocsparseL22bsrxmvn_general_kernelILj256ELj16EdiidddEEv20rocsparse_direction_NS_24const_host_device_scalarIT1_EET3_PKS5_PKT2_SA_S7_PKT4_S5_PKT5_S4_PT6_21rocsparse_index_base_b: ; @_ZN9rocsparseL22bsrxmvn_general_kernelILj256ELj16EdiidddEEv20rocsparse_direction_NS_24const_host_device_scalarIT1_EET3_PKS5_PKT2_SA_S7_PKT4_S5_PKT5_S4_PT6_21rocsparse_index_base_b
; %bb.0:
	s_clause 0x2
	s_load_b64 s[12:13], s[0:1], 0x60
	s_load_b64 s[4:5], s[0:1], 0x8
	;; [unrolled: 1-line block ×3, first 2 shown]
	s_wait_kmcnt 0x0
	s_bitcmp1_b32 s13, 0
	v_dual_mov_b32 v1, s4 :: v_dual_mov_b32 v2, s5
	s_cselect_b32 s6, -1, 0
	s_delay_alu instid0(SALU_CYCLE_1)
	s_and_b32 vcc_lo, exec_lo, s6
	s_xor_b32 s6, s6, -1
	s_cbranch_vccnz .LBB4_2
; %bb.1:
	v_dual_mov_b32 v1, s4 :: v_dual_mov_b32 v2, s5
	flat_load_b64 v[1:2], v[1:2]
.LBB4_2:
	v_dual_mov_b32 v4, s3 :: v_dual_mov_b32 v3, s2
	s_and_not1_b32 vcc_lo, exec_lo, s6
	s_cbranch_vccnz .LBB4_4
; %bb.3:
	v_dual_mov_b32 v4, s3 :: v_dual_mov_b32 v3, s2
	flat_load_b64 v[3:4], v[3:4]
.LBB4_4:
	s_wait_loadcnt_dscnt 0x0
	v_cmp_neq_f64_e32 vcc_lo, 0, v[1:2]
	v_cmp_neq_f64_e64 s2, 1.0, v[3:4]
	s_or_b32 s2, vcc_lo, s2
	s_wait_alu 0xfffe
	s_and_saveexec_b32 s3, s2
	s_cbranch_execz .LBB4_27
; %bb.5:
	s_load_b64 s[2:3], s[0:1], 0x18
	s_wait_kmcnt 0x0
	s_cmp_eq_u64 s[2:3], 0
	s_cbranch_scc1 .LBB4_7
; %bb.6:
	s_mov_b32 s4, ttmp9
	s_ashr_i32 s5, ttmp9, 31
	s_wait_alu 0xfffe
	s_lshl_b64 s[4:5], s[4:5], 2
	s_wait_alu 0xfffe
	s_add_nc_u64 s[2:3], s[2:3], s[4:5]
	s_load_b32 s2, s[2:3], 0x0
	s_wait_kmcnt 0x0
	s_sub_co_i32 s20, s2, s12
	s_branch .LBB4_8
.LBB4_7:
	s_mov_b32 s20, ttmp9
.LBB4_8:
	s_load_b32 s14, s[0:1], 0x40
	v_lshrrev_b32_e32 v5, 4, v0
	s_wait_kmcnt 0x0
	s_delay_alu instid0(VALU_DEP_1)
	v_cmp_gt_i32_e32 vcc_lo, s14, v5
	s_and_b32 exec_lo, exec_lo, vcc_lo
	s_cbranch_execz .LBB4_27
; %bb.9:
	s_load_b256 s[4:11], s[0:1], 0x20
	s_ashr_i32 s21, s20, 31
	v_mbcnt_lo_u32_b32 v9, -1, 0
	s_lshl_b64 s[2:3], s[20:21], 2
	s_load_b32 s21, s[0:1], 0x0
	v_dual_mov_b32 v6, 0 :: v_dual_and_b32 v7, 15, v0
	s_delay_alu instid0(VALU_DEP_2)
	v_xor_b32_e32 v10, 8, v9
	v_xor_b32_e32 v11, 4, v9
	;; [unrolled: 1-line block ×4, first 2 shown]
	v_mul_lo_u32 v0, s14, v5
	v_cmp_gt_i32_e32 vcc_lo, 32, v10
	v_mul_lo_u32 v17, s14, v7
	s_mov_b32 s15, 0
	s_mul_i32 s25, s20, s14
	v_cndmask_b32_e32 v10, v9, v10, vcc_lo
	v_cmp_gt_i32_e32 vcc_lo, 32, v11
	v_mov_b32_e32 v8, v6
	s_wait_kmcnt 0x0
	s_add_nc_u64 s[18:19], s[4:5], s[2:3]
	s_add_nc_u64 s[2:3], s[6:7], s[2:3]
	s_load_b32 s13, s[18:19], 0x0
	s_clause 0x1
	s_load_b64 s[4:5], s[0:1], 0x58
	s_load_b64 s[16:17], s[0:1], 0x48
	v_cmp_eq_f64_e64 s0, 0, v[3:4]
	s_add_nc_u64 s[22:23], s[18:19], 4
	v_cndmask_b32_e32 v11, v9, v11, vcc_lo
	v_cmp_gt_i32_e32 vcc_lo, 32, v12
	v_cmp_gt_u32_e64 s1, s14, v7
	s_wait_alu 0xfffd
	s_delay_alu instid0(VALU_DEP_3)
	v_dual_cndmask_b32 v12, v9, v12 :: v_dual_lshlrev_b32 v19, 2, v11
	v_cmp_gt_i32_e32 vcc_lo, 32, v13
	s_wait_alu 0xfffd
	v_dual_cndmask_b32 v9, v9, v13 :: v_dual_lshlrev_b32 v18, 2, v10
	s_wait_kmcnt 0x0
	s_sub_co_i32 s18, s13, s12
	s_cmp_eq_u64 s[6:7], 0
	s_delay_alu instid0(VALU_DEP_1)
	v_lshlrev_b32_e32 v21, 2, v9
	s_cselect_b32 s3, s23, s3
	s_cselect_b32 s2, s22, s2
	v_lshlrev_b32_e32 v20, 2, v12
	s_load_b32 s19, s[2:3], 0x0
	v_cmp_eq_u32_e64 s2, 15, v7
	s_mul_u64 s[6:7], s[14:15], s[14:15]
	s_wait_kmcnt 0x0
	s_sub_co_i32 s3, s19, s12
	s_cmp_lt_i32 s13, s19
	s_cselect_b32 s13, -1, 0
	s_cmp_lg_u32 s21, 0
	s_cselect_b32 s24, -1, 0
	s_ashr_i32 s19, s18, 31
	s_delay_alu instid0(SALU_CYCLE_1)
	s_mul_u64 s[20:21], s[18:19], s[6:7]
	s_lshl_b32 s19, s14, 4
	s_branch .LBB4_11
.LBB4_10:                               ;   in Loop: Header=BB4_11 Depth=1
	s_wait_alu 0xfffe
	s_or_b32 exec_lo, exec_lo, s22
	v_add_nc_u32_e32 v5, 16, v5
	v_add_nc_u32_e32 v0, s19, v0
	s_delay_alu instid0(VALU_DEP_2)
	v_cmp_le_i32_e32 vcc_lo, s14, v5
	s_or_b32 s15, vcc_lo, s15
	s_wait_alu 0xfffe
	s_and_not1_b32 exec_lo, exec_lo, s15
	s_cbranch_execz .LBB4_27
.LBB4_11:                               ; =>This Loop Header: Depth=1
                                        ;     Child Loop BB4_15 Depth 2
                                        ;       Child Loop BB4_18 Depth 3
	v_mov_b32_e32 v9, 0
	v_mov_b32_e32 v10, 0
	s_and_not1_b32 vcc_lo, exec_lo, s13
	s_wait_alu 0xfffe
	s_cbranch_vccnz .LBB4_22
; %bb.12:                               ;   in Loop: Header=BB4_11 Depth=1
	s_wait_dscnt 0x1
	v_ashrrev_i32_e32 v11, 31, v0
	v_add_co_u32 v22, vcc_lo, s20, v0
	v_mov_b32_e32 v9, 0
	v_mov_b32_e32 v10, 0
	s_wait_alu 0xfffd
	v_add_co_ci_u32_e64 v23, null, s21, v11, vcc_lo
	s_mov_b32 s22, s18
	s_branch .LBB4_15
.LBB4_13:                               ;   in Loop: Header=BB4_15 Depth=2
	s_or_b32 exec_lo, exec_lo, s23
.LBB4_14:                               ;   in Loop: Header=BB4_15 Depth=2
	s_wait_alu 0xfffe
	s_or_b32 exec_lo, exec_lo, s26
	v_add_co_u32 v22, vcc_lo, v22, s6
	s_wait_alu 0xfffd
	v_add_co_ci_u32_e64 v23, null, s7, v23, vcc_lo
	s_add_co_i32 s22, s22, 1
	s_wait_alu 0xfffe
	s_cmp_ge_i32 s22, s3
	s_cbranch_scc1 .LBB4_22
.LBB4_15:                               ;   Parent Loop BB4_11 Depth=1
                                        ; =>  This Loop Header: Depth=2
                                        ;       Child Loop BB4_18 Depth 3
	s_and_saveexec_b32 s26, s1
	s_cbranch_execz .LBB4_14
; %bb.16:                               ;   in Loop: Header=BB4_15 Depth=2
	s_wait_alu 0xfffe
	s_ashr_i32 s23, s22, 31
	s_wait_dscnt 0x0
	v_mad_co_u64_u32 v[11:12], null, s6, s22, v[5:6]
	s_wait_alu 0xfffe
	s_lshl_b64 s[28:29], s[22:23], 2
	s_mul_i32 s23, s6, s23
	s_wait_alu 0xfffe
	s_add_nc_u64 s[28:29], s[8:9], s[28:29]
	v_mov_b32_e32 v14, v8
	s_load_b32 s27, s[28:29], 0x0
	s_mul_i32 s28, s7, s22
	v_dual_mov_b32 v24, v17 :: v_dual_mov_b32 v13, v7
	s_wait_alu 0xfffe
	v_add3_u32 v12, s23, s28, v12
	s_wait_kmcnt 0x0
	s_sub_co_i32 s23, s27, s12
	s_wait_alu 0xfffe
	s_mul_i32 s27, s23, s14
	s_mov_b32 s23, 0
	s_branch .LBB4_18
.LBB4_17:                               ;   in Loop: Header=BB4_18 Depth=3
	v_add_nc_u32_e32 v25, s27, v13
	s_delay_alu instid0(VALU_DEP_2) | instskip(SKIP_1) | instid1(VALU_DEP_3)
	v_lshlrev_b64_e32 v[15:16], 3, v[15:16]
	v_add_nc_u32_e32 v24, s19, v24
	v_ashrrev_i32_e32 v26, 31, v25
	s_delay_alu instid0(VALU_DEP_3) | instskip(SKIP_1) | instid1(VALU_DEP_4)
	v_add_co_u32 v15, vcc_lo, s10, v15
	s_wait_alu 0xfffd
	v_add_co_ci_u32_e64 v16, null, s11, v16, vcc_lo
	s_delay_alu instid0(VALU_DEP_3) | instskip(NEXT) | instid1(VALU_DEP_1)
	v_lshlrev_b64_e32 v[25:26], 3, v[25:26]
	v_add_co_u32 v25, vcc_lo, s16, v25
	s_wait_alu 0xfffd
	s_delay_alu instid0(VALU_DEP_2)
	v_add_co_ci_u32_e64 v26, null, s17, v26, vcc_lo
	v_add_co_u32 v13, vcc_lo, v13, 16
	global_load_b64 v[15:16], v[15:16], off
	global_load_b64 v[25:26], v[25:26], off
	s_wait_alu 0xfffd
	v_add_co_ci_u32_e64 v14, null, 0, v14, vcc_lo
	v_cmp_le_i32_e32 vcc_lo, s14, v13
	s_or_b32 s23, vcc_lo, s23
	s_wait_loadcnt 0x0
	v_fma_f64 v[9:10], v[15:16], v[25:26], v[9:10]
	s_wait_alu 0xfffe
	s_and_not1_b32 exec_lo, exec_lo, s23
	s_cbranch_execz .LBB4_13
.LBB4_18:                               ;   Parent Loop BB4_11 Depth=1
                                        ;     Parent Loop BB4_15 Depth=2
                                        ; =>    This Inner Loop Header: Depth=3
	s_and_b32 vcc_lo, exec_lo, s24
	s_wait_alu 0xfffe
	s_cbranch_vccz .LBB4_20
; %bb.19:                               ;   in Loop: Header=BB4_18 Depth=3
	v_ashrrev_i32_e32 v16, 31, v24
	v_add_co_u32 v15, vcc_lo, v11, v24
	s_wait_alu 0xfffd
	s_delay_alu instid0(VALU_DEP_2)
	v_add_co_ci_u32_e64 v16, null, v12, v16, vcc_lo
	s_cbranch_execnz .LBB4_17
	s_branch .LBB4_21
.LBB4_20:                               ;   in Loop: Header=BB4_18 Depth=3
                                        ; implicit-def: $vgpr15_vgpr16
.LBB4_21:                               ;   in Loop: Header=BB4_18 Depth=3
	v_add_co_u32 v15, vcc_lo, v22, v13
	s_wait_alu 0xfffd
	v_add_co_ci_u32_e64 v16, null, v23, v14, vcc_lo
	s_branch .LBB4_17
.LBB4_22:                               ;   in Loop: Header=BB4_11 Depth=1
	s_wait_dscnt 0x1
	ds_bpermute_b32 v11, v18, v9
	s_wait_dscnt 0x1
	ds_bpermute_b32 v12, v18, v10
	s_wait_dscnt 0x0
	v_add_f64_e32 v[9:10], v[9:10], v[11:12]
	ds_bpermute_b32 v11, v19, v9
	ds_bpermute_b32 v12, v19, v10
	s_wait_dscnt 0x0
	v_add_f64_e32 v[9:10], v[9:10], v[11:12]
	ds_bpermute_b32 v11, v20, v9
	;; [unrolled: 4-line block ×3, first 2 shown]
	ds_bpermute_b32 v12, v21, v10
	s_and_saveexec_b32 s22, s2
	s_cbranch_execz .LBB4_10
; %bb.23:                               ;   in Loop: Header=BB4_11 Depth=1
	s_wait_dscnt 0x0
	v_add_f64_e32 v[9:10], v[9:10], v[11:12]
	v_add_nc_u32_e32 v11, s25, v5
	s_delay_alu instid0(VALU_DEP_1) | instskip(NEXT) | instid1(VALU_DEP_3)
	v_ashrrev_i32_e32 v12, 31, v11
	v_mul_f64_e32 v[9:10], v[1:2], v[9:10]
	s_and_saveexec_b32 s23, s0
	s_wait_alu 0xfffe
	s_xor_b32 s23, exec_lo, s23
	s_cbranch_execz .LBB4_25
; %bb.24:                               ;   in Loop: Header=BB4_11 Depth=1
	v_lshlrev_b64_e32 v[11:12], 3, v[11:12]
	s_delay_alu instid0(VALU_DEP_1) | instskip(SKIP_1) | instid1(VALU_DEP_2)
	v_add_co_u32 v11, vcc_lo, s4, v11
	s_wait_alu 0xfffd
	v_add_co_ci_u32_e64 v12, null, s5, v12, vcc_lo
	global_store_b64 v[11:12], v[9:10], off
                                        ; implicit-def: $vgpr11
                                        ; implicit-def: $vgpr9_vgpr10
.LBB4_25:                               ;   in Loop: Header=BB4_11 Depth=1
	s_wait_alu 0xfffe
	s_and_not1_saveexec_b32 s23, s23
	s_cbranch_execz .LBB4_10
; %bb.26:                               ;   in Loop: Header=BB4_11 Depth=1
	v_lshlrev_b64_e32 v[11:12], 3, v[11:12]
	s_delay_alu instid0(VALU_DEP_1) | instskip(SKIP_1) | instid1(VALU_DEP_2)
	v_add_co_u32 v11, vcc_lo, s4, v11
	s_wait_alu 0xfffd
	v_add_co_ci_u32_e64 v12, null, s5, v12, vcc_lo
	global_load_b64 v[13:14], v[11:12], off
	s_wait_loadcnt 0x0
	v_fma_f64 v[9:10], v[3:4], v[13:14], v[9:10]
	global_store_b64 v[11:12], v[9:10], off
	s_branch .LBB4_10
.LBB4_27:
	s_endpgm
	.section	.rodata,"a",@progbits
	.p2align	6, 0x0
	.amdhsa_kernel _ZN9rocsparseL22bsrxmvn_general_kernelILj256ELj16EdiidddEEv20rocsparse_direction_NS_24const_host_device_scalarIT1_EET3_PKS5_PKT2_SA_S7_PKT4_S5_PKT5_S4_PT6_21rocsparse_index_base_b
		.amdhsa_group_segment_fixed_size 0
		.amdhsa_private_segment_fixed_size 0
		.amdhsa_kernarg_size 104
		.amdhsa_user_sgpr_count 2
		.amdhsa_user_sgpr_dispatch_ptr 0
		.amdhsa_user_sgpr_queue_ptr 0
		.amdhsa_user_sgpr_kernarg_segment_ptr 1
		.amdhsa_user_sgpr_dispatch_id 0
		.amdhsa_user_sgpr_private_segment_size 0
		.amdhsa_wavefront_size32 1
		.amdhsa_uses_dynamic_stack 0
		.amdhsa_enable_private_segment 0
		.amdhsa_system_sgpr_workgroup_id_x 1
		.amdhsa_system_sgpr_workgroup_id_y 0
		.amdhsa_system_sgpr_workgroup_id_z 0
		.amdhsa_system_sgpr_workgroup_info 0
		.amdhsa_system_vgpr_workitem_id 0
		.amdhsa_next_free_vgpr 27
		.amdhsa_next_free_sgpr 30
		.amdhsa_reserve_vcc 1
		.amdhsa_float_round_mode_32 0
		.amdhsa_float_round_mode_16_64 0
		.amdhsa_float_denorm_mode_32 3
		.amdhsa_float_denorm_mode_16_64 3
		.amdhsa_fp16_overflow 0
		.amdhsa_workgroup_processor_mode 1
		.amdhsa_memory_ordered 1
		.amdhsa_forward_progress 1
		.amdhsa_inst_pref_size 11
		.amdhsa_round_robin_scheduling 0
		.amdhsa_exception_fp_ieee_invalid_op 0
		.amdhsa_exception_fp_denorm_src 0
		.amdhsa_exception_fp_ieee_div_zero 0
		.amdhsa_exception_fp_ieee_overflow 0
		.amdhsa_exception_fp_ieee_underflow 0
		.amdhsa_exception_fp_ieee_inexact 0
		.amdhsa_exception_int_div_zero 0
	.end_amdhsa_kernel
	.section	.text._ZN9rocsparseL22bsrxmvn_general_kernelILj256ELj16EdiidddEEv20rocsparse_direction_NS_24const_host_device_scalarIT1_EET3_PKS5_PKT2_SA_S7_PKT4_S5_PKT5_S4_PT6_21rocsparse_index_base_b,"axG",@progbits,_ZN9rocsparseL22bsrxmvn_general_kernelILj256ELj16EdiidddEEv20rocsparse_direction_NS_24const_host_device_scalarIT1_EET3_PKS5_PKT2_SA_S7_PKT4_S5_PKT5_S4_PT6_21rocsparse_index_base_b,comdat
.Lfunc_end4:
	.size	_ZN9rocsparseL22bsrxmvn_general_kernelILj256ELj16EdiidddEEv20rocsparse_direction_NS_24const_host_device_scalarIT1_EET3_PKS5_PKT2_SA_S7_PKT4_S5_PKT5_S4_PT6_21rocsparse_index_base_b, .Lfunc_end4-_ZN9rocsparseL22bsrxmvn_general_kernelILj256ELj16EdiidddEEv20rocsparse_direction_NS_24const_host_device_scalarIT1_EET3_PKS5_PKT2_SA_S7_PKT4_S5_PKT5_S4_PT6_21rocsparse_index_base_b
                                        ; -- End function
	.set _ZN9rocsparseL22bsrxmvn_general_kernelILj256ELj16EdiidddEEv20rocsparse_direction_NS_24const_host_device_scalarIT1_EET3_PKS5_PKT2_SA_S7_PKT4_S5_PKT5_S4_PT6_21rocsparse_index_base_b.num_vgpr, 27
	.set _ZN9rocsparseL22bsrxmvn_general_kernelILj256ELj16EdiidddEEv20rocsparse_direction_NS_24const_host_device_scalarIT1_EET3_PKS5_PKT2_SA_S7_PKT4_S5_PKT5_S4_PT6_21rocsparse_index_base_b.num_agpr, 0
	.set _ZN9rocsparseL22bsrxmvn_general_kernelILj256ELj16EdiidddEEv20rocsparse_direction_NS_24const_host_device_scalarIT1_EET3_PKS5_PKT2_SA_S7_PKT4_S5_PKT5_S4_PT6_21rocsparse_index_base_b.numbered_sgpr, 30
	.set _ZN9rocsparseL22bsrxmvn_general_kernelILj256ELj16EdiidddEEv20rocsparse_direction_NS_24const_host_device_scalarIT1_EET3_PKS5_PKT2_SA_S7_PKT4_S5_PKT5_S4_PT6_21rocsparse_index_base_b.num_named_barrier, 0
	.set _ZN9rocsparseL22bsrxmvn_general_kernelILj256ELj16EdiidddEEv20rocsparse_direction_NS_24const_host_device_scalarIT1_EET3_PKS5_PKT2_SA_S7_PKT4_S5_PKT5_S4_PT6_21rocsparse_index_base_b.private_seg_size, 0
	.set _ZN9rocsparseL22bsrxmvn_general_kernelILj256ELj16EdiidddEEv20rocsparse_direction_NS_24const_host_device_scalarIT1_EET3_PKS5_PKT2_SA_S7_PKT4_S5_PKT5_S4_PT6_21rocsparse_index_base_b.uses_vcc, 1
	.set _ZN9rocsparseL22bsrxmvn_general_kernelILj256ELj16EdiidddEEv20rocsparse_direction_NS_24const_host_device_scalarIT1_EET3_PKS5_PKT2_SA_S7_PKT4_S5_PKT5_S4_PT6_21rocsparse_index_base_b.uses_flat_scratch, 0
	.set _ZN9rocsparseL22bsrxmvn_general_kernelILj256ELj16EdiidddEEv20rocsparse_direction_NS_24const_host_device_scalarIT1_EET3_PKS5_PKT2_SA_S7_PKT4_S5_PKT5_S4_PT6_21rocsparse_index_base_b.has_dyn_sized_stack, 0
	.set _ZN9rocsparseL22bsrxmvn_general_kernelILj256ELj16EdiidddEEv20rocsparse_direction_NS_24const_host_device_scalarIT1_EET3_PKS5_PKT2_SA_S7_PKT4_S5_PKT5_S4_PT6_21rocsparse_index_base_b.has_recursion, 0
	.set _ZN9rocsparseL22bsrxmvn_general_kernelILj256ELj16EdiidddEEv20rocsparse_direction_NS_24const_host_device_scalarIT1_EET3_PKS5_PKT2_SA_S7_PKT4_S5_PKT5_S4_PT6_21rocsparse_index_base_b.has_indirect_call, 0
	.section	.AMDGPU.csdata,"",@progbits
; Kernel info:
; codeLenInByte = 1300
; TotalNumSgprs: 32
; NumVgprs: 27
; ScratchSize: 0
; MemoryBound: 0
; FloatMode: 240
; IeeeMode: 1
; LDSByteSize: 0 bytes/workgroup (compile time only)
; SGPRBlocks: 0
; VGPRBlocks: 3
; NumSGPRsForWavesPerEU: 32
; NumVGPRsForWavesPerEU: 27
; Occupancy: 16
; WaveLimiterHint : 1
; COMPUTE_PGM_RSRC2:SCRATCH_EN: 0
; COMPUTE_PGM_RSRC2:USER_SGPR: 2
; COMPUTE_PGM_RSRC2:TRAP_HANDLER: 0
; COMPUTE_PGM_RSRC2:TGID_X_EN: 1
; COMPUTE_PGM_RSRC2:TGID_Y_EN: 0
; COMPUTE_PGM_RSRC2:TGID_Z_EN: 0
; COMPUTE_PGM_RSRC2:TIDIG_COMP_CNT: 0
	.section	.text._ZN9rocsparseL22bsrxmvn_general_kernelILj1024ELj32EdiidddEEv20rocsparse_direction_NS_24const_host_device_scalarIT1_EET3_PKS5_PKT2_SA_S7_PKT4_S5_PKT5_S4_PT6_21rocsparse_index_base_b,"axG",@progbits,_ZN9rocsparseL22bsrxmvn_general_kernelILj1024ELj32EdiidddEEv20rocsparse_direction_NS_24const_host_device_scalarIT1_EET3_PKS5_PKT2_SA_S7_PKT4_S5_PKT5_S4_PT6_21rocsparse_index_base_b,comdat
	.globl	_ZN9rocsparseL22bsrxmvn_general_kernelILj1024ELj32EdiidddEEv20rocsparse_direction_NS_24const_host_device_scalarIT1_EET3_PKS5_PKT2_SA_S7_PKT4_S5_PKT5_S4_PT6_21rocsparse_index_base_b ; -- Begin function _ZN9rocsparseL22bsrxmvn_general_kernelILj1024ELj32EdiidddEEv20rocsparse_direction_NS_24const_host_device_scalarIT1_EET3_PKS5_PKT2_SA_S7_PKT4_S5_PKT5_S4_PT6_21rocsparse_index_base_b
	.p2align	8
	.type	_ZN9rocsparseL22bsrxmvn_general_kernelILj1024ELj32EdiidddEEv20rocsparse_direction_NS_24const_host_device_scalarIT1_EET3_PKS5_PKT2_SA_S7_PKT4_S5_PKT5_S4_PT6_21rocsparse_index_base_b,@function
_ZN9rocsparseL22bsrxmvn_general_kernelILj1024ELj32EdiidddEEv20rocsparse_direction_NS_24const_host_device_scalarIT1_EET3_PKS5_PKT2_SA_S7_PKT4_S5_PKT5_S4_PT6_21rocsparse_index_base_b: ; @_ZN9rocsparseL22bsrxmvn_general_kernelILj1024ELj32EdiidddEEv20rocsparse_direction_NS_24const_host_device_scalarIT1_EET3_PKS5_PKT2_SA_S7_PKT4_S5_PKT5_S4_PT6_21rocsparse_index_base_b
; %bb.0:
	s_clause 0x2
	s_load_b64 s[12:13], s[0:1], 0x60
	s_load_b64 s[4:5], s[0:1], 0x8
	s_load_b64 s[2:3], s[0:1], 0x50
	s_wait_kmcnt 0x0
	s_bitcmp1_b32 s13, 0
	v_dual_mov_b32 v1, s4 :: v_dual_mov_b32 v2, s5
	s_cselect_b32 s6, -1, 0
	s_delay_alu instid0(SALU_CYCLE_1)
	s_and_b32 vcc_lo, exec_lo, s6
	s_xor_b32 s6, s6, -1
	s_cbranch_vccnz .LBB5_2
; %bb.1:
	v_dual_mov_b32 v1, s4 :: v_dual_mov_b32 v2, s5
	flat_load_b64 v[1:2], v[1:2]
.LBB5_2:
	v_dual_mov_b32 v4, s3 :: v_dual_mov_b32 v3, s2
	s_and_not1_b32 vcc_lo, exec_lo, s6
	s_cbranch_vccnz .LBB5_4
; %bb.3:
	v_dual_mov_b32 v4, s3 :: v_dual_mov_b32 v3, s2
	flat_load_b64 v[3:4], v[3:4]
.LBB5_4:
	s_wait_loadcnt_dscnt 0x0
	v_cmp_neq_f64_e32 vcc_lo, 0, v[1:2]
	v_cmp_neq_f64_e64 s2, 1.0, v[3:4]
	s_or_b32 s2, vcc_lo, s2
	s_wait_alu 0xfffe
	s_and_saveexec_b32 s3, s2
	s_cbranch_execz .LBB5_27
; %bb.5:
	s_load_b64 s[2:3], s[0:1], 0x18
	s_wait_kmcnt 0x0
	s_cmp_eq_u64 s[2:3], 0
	s_cbranch_scc1 .LBB5_7
; %bb.6:
	s_mov_b32 s4, ttmp9
	s_ashr_i32 s5, ttmp9, 31
	s_wait_alu 0xfffe
	s_lshl_b64 s[4:5], s[4:5], 2
	s_wait_alu 0xfffe
	s_add_nc_u64 s[2:3], s[2:3], s[4:5]
	s_load_b32 s2, s[2:3], 0x0
	s_wait_kmcnt 0x0
	s_sub_co_i32 s22, s2, s12
	s_branch .LBB5_8
.LBB5_7:
	s_mov_b32 s22, ttmp9
.LBB5_8:
	s_load_b32 s14, s[0:1], 0x40
	v_lshrrev_b32_e32 v5, 5, v0
	s_wait_kmcnt 0x0
	s_delay_alu instid0(VALU_DEP_1)
	v_cmp_gt_i32_e32 vcc_lo, s14, v5
	s_and_b32 exec_lo, exec_lo, vcc_lo
	s_cbranch_execz .LBB5_27
; %bb.9:
	s_load_b256 s[4:11], s[0:1], 0x20
	s_ashr_i32 s23, s22, 31
	v_mbcnt_lo_u32_b32 v9, -1, 0
	s_lshl_b64 s[2:3], s[22:23], 2
	s_load_b32 s23, s[0:1], 0x0
	v_dual_mov_b32 v6, 0 :: v_dual_and_b32 v7, 31, v0
	s_delay_alu instid0(VALU_DEP_2)
	v_xor_b32_e32 v10, 16, v9
	v_xor_b32_e32 v11, 8, v9
	;; [unrolled: 1-line block ×5, first 2 shown]
	v_cmp_gt_i32_e32 vcc_lo, 32, v10
	v_mul_lo_u32 v0, s14, v5
	v_mul_lo_u32 v17, s14, v7
	s_mov_b32 s15, 0
	v_cndmask_b32_e32 v10, v9, v10, vcc_lo
	v_cmp_gt_i32_e32 vcc_lo, 32, v11
	v_mov_b32_e32 v8, v6
	s_wait_kmcnt 0x0
	s_add_nc_u64 s[20:21], s[4:5], s[2:3]
	s_add_nc_u64 s[2:3], s[6:7], s[2:3]
	s_load_b32 s13, s[20:21], 0x0
	s_clause 0x1
	s_load_b64 s[4:5], s[0:1], 0x58
	s_load_b64 s[16:17], s[0:1], 0x48
	v_cmp_eq_f64_e64 s0, 0, v[3:4]
	s_add_nc_u64 s[24:25], s[20:21], 4
	v_cndmask_b32_e32 v11, v9, v11, vcc_lo
	v_cmp_gt_i32_e32 vcc_lo, 32, v12
	v_cmp_gt_u32_e64 s1, s14, v7
	s_mul_u64 s[18:19], s[14:15], s[14:15]
	s_wait_alu 0xfffd
	v_dual_cndmask_b32 v12, v9, v12 :: v_dual_lshlrev_b32 v19, 2, v11
	v_cmp_gt_i32_e32 vcc_lo, 32, v13
	s_wait_alu 0xfffd
	v_dual_cndmask_b32 v13, v9, v13 :: v_dual_lshlrev_b32 v18, 2, v10
	v_cmp_gt_i32_e32 vcc_lo, 32, v14
	s_wait_kmcnt 0x0
	s_sub_co_i32 s20, s13, s12
	s_cmp_eq_u64 s[6:7], 0
	v_lshlrev_b32_e32 v21, 2, v13
	s_cselect_b32 s3, s25, s3
	s_cselect_b32 s2, s24, s2
	s_wait_alu 0xfffd
	v_dual_cndmask_b32 v9, v9, v14 :: v_dual_lshlrev_b32 v20, 2, v12
	s_load_b32 s6, s[2:3], 0x0
	v_cmp_eq_u32_e64 s2, 31, v7
	s_mul_i32 s25, s22, s14
	v_lshlrev_b32_e32 v22, 2, v9
	s_wait_kmcnt 0x0
	s_sub_co_i32 s3, s6, s12
	s_cmp_lt_i32 s13, s6
	s_cselect_b32 s13, -1, 0
	s_cmp_lg_u32 s23, 0
	s_cselect_b32 s24, -1, 0
	s_ashr_i32 s21, s20, 31
	s_delay_alu instid0(SALU_CYCLE_1)
	s_mul_u64 s[6:7], s[20:21], s[18:19]
	s_lshl_b32 s21, s14, 5
	s_branch .LBB5_11
.LBB5_10:                               ;   in Loop: Header=BB5_11 Depth=1
	s_wait_alu 0xfffe
	s_or_b32 exec_lo, exec_lo, s22
	v_add_nc_u32_e32 v5, 32, v5
	v_add_nc_u32_e32 v0, s21, v0
	s_delay_alu instid0(VALU_DEP_2)
	v_cmp_le_i32_e32 vcc_lo, s14, v5
	s_or_b32 s15, vcc_lo, s15
	s_wait_alu 0xfffe
	s_and_not1_b32 exec_lo, exec_lo, s15
	s_cbranch_execz .LBB5_27
.LBB5_11:                               ; =>This Loop Header: Depth=1
                                        ;     Child Loop BB5_15 Depth 2
                                        ;       Child Loop BB5_18 Depth 3
	v_mov_b32_e32 v9, 0
	v_mov_b32_e32 v10, 0
	s_and_not1_b32 vcc_lo, exec_lo, s13
	s_wait_alu 0xfffe
	s_cbranch_vccnz .LBB5_22
; %bb.12:                               ;   in Loop: Header=BB5_11 Depth=1
	s_wait_dscnt 0x1
	v_ashrrev_i32_e32 v11, 31, v0
	v_add_co_u32 v23, vcc_lo, s6, v0
	v_mov_b32_e32 v9, 0
	v_mov_b32_e32 v10, 0
	s_wait_alu 0xfffd
	v_add_co_ci_u32_e64 v24, null, s7, v11, vcc_lo
	s_mov_b32 s22, s20
	s_branch .LBB5_15
.LBB5_13:                               ;   in Loop: Header=BB5_15 Depth=2
	s_or_b32 exec_lo, exec_lo, s23
.LBB5_14:                               ;   in Loop: Header=BB5_15 Depth=2
	s_wait_alu 0xfffe
	s_or_b32 exec_lo, exec_lo, s26
	v_add_co_u32 v23, vcc_lo, v23, s18
	s_wait_alu 0xfffd
	v_add_co_ci_u32_e64 v24, null, s19, v24, vcc_lo
	s_add_co_i32 s22, s22, 1
	s_wait_alu 0xfffe
	s_cmp_ge_i32 s22, s3
	s_cbranch_scc1 .LBB5_22
.LBB5_15:                               ;   Parent Loop BB5_11 Depth=1
                                        ; =>  This Loop Header: Depth=2
                                        ;       Child Loop BB5_18 Depth 3
	s_and_saveexec_b32 s26, s1
	s_cbranch_execz .LBB5_14
; %bb.16:                               ;   in Loop: Header=BB5_15 Depth=2
	s_wait_alu 0xfffe
	s_ashr_i32 s23, s22, 31
	s_wait_dscnt 0x0
	v_mad_co_u64_u32 v[11:12], null, s18, s22, v[5:6]
	s_wait_alu 0xfffe
	s_lshl_b64 s[28:29], s[22:23], 2
	s_mul_i32 s23, s18, s23
	s_wait_alu 0xfffe
	s_add_nc_u64 s[28:29], s[8:9], s[28:29]
	v_dual_mov_b32 v25, v17 :: v_dual_mov_b32 v14, v8
	s_load_b32 s27, s[28:29], 0x0
	s_mul_i32 s28, s19, s22
	v_mov_b32_e32 v13, v7
	s_wait_alu 0xfffe
	v_add3_u32 v12, s23, s28, v12
	s_wait_kmcnt 0x0
	s_sub_co_i32 s23, s27, s12
	s_wait_alu 0xfffe
	s_mul_i32 s27, s23, s14
	s_mov_b32 s23, 0
	s_branch .LBB5_18
.LBB5_17:                               ;   in Loop: Header=BB5_18 Depth=3
	v_add_nc_u32_e32 v26, s27, v13
	s_delay_alu instid0(VALU_DEP_2) | instskip(SKIP_1) | instid1(VALU_DEP_3)
	v_lshlrev_b64_e32 v[15:16], 3, v[15:16]
	v_add_nc_u32_e32 v25, s21, v25
	v_ashrrev_i32_e32 v27, 31, v26
	s_delay_alu instid0(VALU_DEP_3) | instskip(SKIP_1) | instid1(VALU_DEP_4)
	v_add_co_u32 v15, vcc_lo, s10, v15
	s_wait_alu 0xfffd
	v_add_co_ci_u32_e64 v16, null, s11, v16, vcc_lo
	s_delay_alu instid0(VALU_DEP_3) | instskip(NEXT) | instid1(VALU_DEP_1)
	v_lshlrev_b64_e32 v[26:27], 3, v[26:27]
	v_add_co_u32 v26, vcc_lo, s16, v26
	s_wait_alu 0xfffd
	s_delay_alu instid0(VALU_DEP_2)
	v_add_co_ci_u32_e64 v27, null, s17, v27, vcc_lo
	v_add_co_u32 v13, vcc_lo, v13, 32
	global_load_b64 v[15:16], v[15:16], off
	global_load_b64 v[26:27], v[26:27], off
	s_wait_alu 0xfffd
	v_add_co_ci_u32_e64 v14, null, 0, v14, vcc_lo
	v_cmp_le_i32_e32 vcc_lo, s14, v13
	s_or_b32 s23, vcc_lo, s23
	s_wait_loadcnt 0x0
	v_fma_f64 v[9:10], v[15:16], v[26:27], v[9:10]
	s_wait_alu 0xfffe
	s_and_not1_b32 exec_lo, exec_lo, s23
	s_cbranch_execz .LBB5_13
.LBB5_18:                               ;   Parent Loop BB5_11 Depth=1
                                        ;     Parent Loop BB5_15 Depth=2
                                        ; =>    This Inner Loop Header: Depth=3
	s_and_b32 vcc_lo, exec_lo, s24
	s_wait_alu 0xfffe
	s_cbranch_vccz .LBB5_20
; %bb.19:                               ;   in Loop: Header=BB5_18 Depth=3
	v_ashrrev_i32_e32 v16, 31, v25
	v_add_co_u32 v15, vcc_lo, v11, v25
	s_wait_alu 0xfffd
	s_delay_alu instid0(VALU_DEP_2)
	v_add_co_ci_u32_e64 v16, null, v12, v16, vcc_lo
	s_cbranch_execnz .LBB5_17
	s_branch .LBB5_21
.LBB5_20:                               ;   in Loop: Header=BB5_18 Depth=3
                                        ; implicit-def: $vgpr15_vgpr16
.LBB5_21:                               ;   in Loop: Header=BB5_18 Depth=3
	v_add_co_u32 v15, vcc_lo, v23, v13
	s_wait_alu 0xfffd
	v_add_co_ci_u32_e64 v16, null, v24, v14, vcc_lo
	s_branch .LBB5_17
.LBB5_22:                               ;   in Loop: Header=BB5_11 Depth=1
	s_wait_dscnt 0x1
	ds_bpermute_b32 v11, v18, v9
	s_wait_dscnt 0x1
	ds_bpermute_b32 v12, v18, v10
	s_wait_dscnt 0x0
	v_add_f64_e32 v[9:10], v[9:10], v[11:12]
	ds_bpermute_b32 v11, v19, v9
	ds_bpermute_b32 v12, v19, v10
	s_wait_dscnt 0x0
	v_add_f64_e32 v[9:10], v[9:10], v[11:12]
	ds_bpermute_b32 v11, v20, v9
	;; [unrolled: 4-line block ×4, first 2 shown]
	ds_bpermute_b32 v12, v22, v10
	s_and_saveexec_b32 s22, s2
	s_cbranch_execz .LBB5_10
; %bb.23:                               ;   in Loop: Header=BB5_11 Depth=1
	s_wait_dscnt 0x0
	v_add_f64_e32 v[9:10], v[9:10], v[11:12]
	v_add_nc_u32_e32 v11, s25, v5
	s_delay_alu instid0(VALU_DEP_1) | instskip(NEXT) | instid1(VALU_DEP_3)
	v_ashrrev_i32_e32 v12, 31, v11
	v_mul_f64_e32 v[9:10], v[1:2], v[9:10]
	s_and_saveexec_b32 s23, s0
	s_wait_alu 0xfffe
	s_xor_b32 s23, exec_lo, s23
	s_cbranch_execz .LBB5_25
; %bb.24:                               ;   in Loop: Header=BB5_11 Depth=1
	v_lshlrev_b64_e32 v[11:12], 3, v[11:12]
	s_delay_alu instid0(VALU_DEP_1) | instskip(SKIP_1) | instid1(VALU_DEP_2)
	v_add_co_u32 v11, vcc_lo, s4, v11
	s_wait_alu 0xfffd
	v_add_co_ci_u32_e64 v12, null, s5, v12, vcc_lo
	global_store_b64 v[11:12], v[9:10], off
                                        ; implicit-def: $vgpr11
                                        ; implicit-def: $vgpr9_vgpr10
.LBB5_25:                               ;   in Loop: Header=BB5_11 Depth=1
	s_wait_alu 0xfffe
	s_and_not1_saveexec_b32 s23, s23
	s_cbranch_execz .LBB5_10
; %bb.26:                               ;   in Loop: Header=BB5_11 Depth=1
	v_lshlrev_b64_e32 v[11:12], 3, v[11:12]
	s_delay_alu instid0(VALU_DEP_1) | instskip(SKIP_1) | instid1(VALU_DEP_2)
	v_add_co_u32 v11, vcc_lo, s4, v11
	s_wait_alu 0xfffd
	v_add_co_ci_u32_e64 v12, null, s5, v12, vcc_lo
	global_load_b64 v[13:14], v[11:12], off
	s_wait_loadcnt 0x0
	v_fma_f64 v[9:10], v[3:4], v[13:14], v[9:10]
	global_store_b64 v[11:12], v[9:10], off
	s_branch .LBB5_10
.LBB5_27:
	s_endpgm
	.section	.rodata,"a",@progbits
	.p2align	6, 0x0
	.amdhsa_kernel _ZN9rocsparseL22bsrxmvn_general_kernelILj1024ELj32EdiidddEEv20rocsparse_direction_NS_24const_host_device_scalarIT1_EET3_PKS5_PKT2_SA_S7_PKT4_S5_PKT5_S4_PT6_21rocsparse_index_base_b
		.amdhsa_group_segment_fixed_size 0
		.amdhsa_private_segment_fixed_size 0
		.amdhsa_kernarg_size 104
		.amdhsa_user_sgpr_count 2
		.amdhsa_user_sgpr_dispatch_ptr 0
		.amdhsa_user_sgpr_queue_ptr 0
		.amdhsa_user_sgpr_kernarg_segment_ptr 1
		.amdhsa_user_sgpr_dispatch_id 0
		.amdhsa_user_sgpr_private_segment_size 0
		.amdhsa_wavefront_size32 1
		.amdhsa_uses_dynamic_stack 0
		.amdhsa_enable_private_segment 0
		.amdhsa_system_sgpr_workgroup_id_x 1
		.amdhsa_system_sgpr_workgroup_id_y 0
		.amdhsa_system_sgpr_workgroup_id_z 0
		.amdhsa_system_sgpr_workgroup_info 0
		.amdhsa_system_vgpr_workitem_id 0
		.amdhsa_next_free_vgpr 28
		.amdhsa_next_free_sgpr 30
		.amdhsa_reserve_vcc 1
		.amdhsa_float_round_mode_32 0
		.amdhsa_float_round_mode_16_64 0
		.amdhsa_float_denorm_mode_32 3
		.amdhsa_float_denorm_mode_16_64 3
		.amdhsa_fp16_overflow 0
		.amdhsa_workgroup_processor_mode 1
		.amdhsa_memory_ordered 1
		.amdhsa_forward_progress 1
		.amdhsa_inst_pref_size 11
		.amdhsa_round_robin_scheduling 0
		.amdhsa_exception_fp_ieee_invalid_op 0
		.amdhsa_exception_fp_denorm_src 0
		.amdhsa_exception_fp_ieee_div_zero 0
		.amdhsa_exception_fp_ieee_overflow 0
		.amdhsa_exception_fp_ieee_underflow 0
		.amdhsa_exception_fp_ieee_inexact 0
		.amdhsa_exception_int_div_zero 0
	.end_amdhsa_kernel
	.section	.text._ZN9rocsparseL22bsrxmvn_general_kernelILj1024ELj32EdiidddEEv20rocsparse_direction_NS_24const_host_device_scalarIT1_EET3_PKS5_PKT2_SA_S7_PKT4_S5_PKT5_S4_PT6_21rocsparse_index_base_b,"axG",@progbits,_ZN9rocsparseL22bsrxmvn_general_kernelILj1024ELj32EdiidddEEv20rocsparse_direction_NS_24const_host_device_scalarIT1_EET3_PKS5_PKT2_SA_S7_PKT4_S5_PKT5_S4_PT6_21rocsparse_index_base_b,comdat
.Lfunc_end5:
	.size	_ZN9rocsparseL22bsrxmvn_general_kernelILj1024ELj32EdiidddEEv20rocsparse_direction_NS_24const_host_device_scalarIT1_EET3_PKS5_PKT2_SA_S7_PKT4_S5_PKT5_S4_PT6_21rocsparse_index_base_b, .Lfunc_end5-_ZN9rocsparseL22bsrxmvn_general_kernelILj1024ELj32EdiidddEEv20rocsparse_direction_NS_24const_host_device_scalarIT1_EET3_PKS5_PKT2_SA_S7_PKT4_S5_PKT5_S4_PT6_21rocsparse_index_base_b
                                        ; -- End function
	.set _ZN9rocsparseL22bsrxmvn_general_kernelILj1024ELj32EdiidddEEv20rocsparse_direction_NS_24const_host_device_scalarIT1_EET3_PKS5_PKT2_SA_S7_PKT4_S5_PKT5_S4_PT6_21rocsparse_index_base_b.num_vgpr, 28
	.set _ZN9rocsparseL22bsrxmvn_general_kernelILj1024ELj32EdiidddEEv20rocsparse_direction_NS_24const_host_device_scalarIT1_EET3_PKS5_PKT2_SA_S7_PKT4_S5_PKT5_S4_PT6_21rocsparse_index_base_b.num_agpr, 0
	.set _ZN9rocsparseL22bsrxmvn_general_kernelILj1024ELj32EdiidddEEv20rocsparse_direction_NS_24const_host_device_scalarIT1_EET3_PKS5_PKT2_SA_S7_PKT4_S5_PKT5_S4_PT6_21rocsparse_index_base_b.numbered_sgpr, 30
	.set _ZN9rocsparseL22bsrxmvn_general_kernelILj1024ELj32EdiidddEEv20rocsparse_direction_NS_24const_host_device_scalarIT1_EET3_PKS5_PKT2_SA_S7_PKT4_S5_PKT5_S4_PT6_21rocsparse_index_base_b.num_named_barrier, 0
	.set _ZN9rocsparseL22bsrxmvn_general_kernelILj1024ELj32EdiidddEEv20rocsparse_direction_NS_24const_host_device_scalarIT1_EET3_PKS5_PKT2_SA_S7_PKT4_S5_PKT5_S4_PT6_21rocsparse_index_base_b.private_seg_size, 0
	.set _ZN9rocsparseL22bsrxmvn_general_kernelILj1024ELj32EdiidddEEv20rocsparse_direction_NS_24const_host_device_scalarIT1_EET3_PKS5_PKT2_SA_S7_PKT4_S5_PKT5_S4_PT6_21rocsparse_index_base_b.uses_vcc, 1
	.set _ZN9rocsparseL22bsrxmvn_general_kernelILj1024ELj32EdiidddEEv20rocsparse_direction_NS_24const_host_device_scalarIT1_EET3_PKS5_PKT2_SA_S7_PKT4_S5_PKT5_S4_PT6_21rocsparse_index_base_b.uses_flat_scratch, 0
	.set _ZN9rocsparseL22bsrxmvn_general_kernelILj1024ELj32EdiidddEEv20rocsparse_direction_NS_24const_host_device_scalarIT1_EET3_PKS5_PKT2_SA_S7_PKT4_S5_PKT5_S4_PT6_21rocsparse_index_base_b.has_dyn_sized_stack, 0
	.set _ZN9rocsparseL22bsrxmvn_general_kernelILj1024ELj32EdiidddEEv20rocsparse_direction_NS_24const_host_device_scalarIT1_EET3_PKS5_PKT2_SA_S7_PKT4_S5_PKT5_S4_PT6_21rocsparse_index_base_b.has_recursion, 0
	.set _ZN9rocsparseL22bsrxmvn_general_kernelILj1024ELj32EdiidddEEv20rocsparse_direction_NS_24const_host_device_scalarIT1_EET3_PKS5_PKT2_SA_S7_PKT4_S5_PKT5_S4_PT6_21rocsparse_index_base_b.has_indirect_call, 0
	.section	.AMDGPU.csdata,"",@progbits
; Kernel info:
; codeLenInByte = 1336
; TotalNumSgprs: 32
; NumVgprs: 28
; ScratchSize: 0
; MemoryBound: 0
; FloatMode: 240
; IeeeMode: 1
; LDSByteSize: 0 bytes/workgroup (compile time only)
; SGPRBlocks: 0
; VGPRBlocks: 3
; NumSGPRsForWavesPerEU: 32
; NumVGPRsForWavesPerEU: 28
; Occupancy: 16
; WaveLimiterHint : 1
; COMPUTE_PGM_RSRC2:SCRATCH_EN: 0
; COMPUTE_PGM_RSRC2:USER_SGPR: 2
; COMPUTE_PGM_RSRC2:TRAP_HANDLER: 0
; COMPUTE_PGM_RSRC2:TGID_X_EN: 1
; COMPUTE_PGM_RSRC2:TGID_Y_EN: 0
; COMPUTE_PGM_RSRC2:TGID_Z_EN: 0
; COMPUTE_PGM_RSRC2:TIDIG_COMP_CNT: 0
	.section	.text._ZN9rocsparseL22bsrxmvn_general_kernelILj64ELj8E21rocsparse_complex_numIfEiiS2_S2_S2_EEv20rocsparse_direction_NS_24const_host_device_scalarIT1_EET3_PKS7_PKT2_SC_S9_PKT4_S7_PKT5_S6_PT6_21rocsparse_index_base_b,"axG",@progbits,_ZN9rocsparseL22bsrxmvn_general_kernelILj64ELj8E21rocsparse_complex_numIfEiiS2_S2_S2_EEv20rocsparse_direction_NS_24const_host_device_scalarIT1_EET3_PKS7_PKT2_SC_S9_PKT4_S7_PKT5_S6_PT6_21rocsparse_index_base_b,comdat
	.globl	_ZN9rocsparseL22bsrxmvn_general_kernelILj64ELj8E21rocsparse_complex_numIfEiiS2_S2_S2_EEv20rocsparse_direction_NS_24const_host_device_scalarIT1_EET3_PKS7_PKT2_SC_S9_PKT4_S7_PKT5_S6_PT6_21rocsparse_index_base_b ; -- Begin function _ZN9rocsparseL22bsrxmvn_general_kernelILj64ELj8E21rocsparse_complex_numIfEiiS2_S2_S2_EEv20rocsparse_direction_NS_24const_host_device_scalarIT1_EET3_PKS7_PKT2_SC_S9_PKT4_S7_PKT5_S6_PT6_21rocsparse_index_base_b
	.p2align	8
	.type	_ZN9rocsparseL22bsrxmvn_general_kernelILj64ELj8E21rocsparse_complex_numIfEiiS2_S2_S2_EEv20rocsparse_direction_NS_24const_host_device_scalarIT1_EET3_PKS7_PKT2_SC_S9_PKT4_S7_PKT5_S6_PT6_21rocsparse_index_base_b,@function
_ZN9rocsparseL22bsrxmvn_general_kernelILj64ELj8E21rocsparse_complex_numIfEiiS2_S2_S2_EEv20rocsparse_direction_NS_24const_host_device_scalarIT1_EET3_PKS7_PKT2_SC_S9_PKT4_S7_PKT5_S6_PT6_21rocsparse_index_base_b: ; @_ZN9rocsparseL22bsrxmvn_general_kernelILj64ELj8E21rocsparse_complex_numIfEiiS2_S2_S2_EEv20rocsparse_direction_NS_24const_host_device_scalarIT1_EET3_PKS7_PKT2_SC_S9_PKT4_S7_PKT5_S6_PT6_21rocsparse_index_base_b
; %bb.0:
	s_clause 0x2
	s_load_b64 s[12:13], s[0:1], 0x60
	s_load_b64 s[2:3], s[0:1], 0x8
	;; [unrolled: 1-line block ×3, first 2 shown]
	s_add_nc_u64 s[6:7], s[0:1], 8
	s_wait_kmcnt 0x0
	s_bitcmp1_b32 s13, 0
	s_cselect_b32 s2, s6, s2
	s_cselect_b32 s3, s7, s3
	s_delay_alu instid0(SALU_CYCLE_1)
	v_dual_mov_b32 v1, s2 :: v_dual_mov_b32 v2, s3
	s_add_nc_u64 s[2:3], s[0:1], 0x50
	s_wait_alu 0xfffe
	s_cselect_b32 s2, s2, s4
	s_cselect_b32 s3, s3, s5
	flat_load_b64 v[1:2], v[1:2]
	s_wait_alu 0xfffe
	v_dual_mov_b32 v3, s2 :: v_dual_mov_b32 v4, s3
	flat_load_b64 v[3:4], v[3:4]
	s_wait_loadcnt_dscnt 0x101
	v_cmp_eq_f32_e32 vcc_lo, 0, v1
	v_cmp_eq_f32_e64 s2, 0, v2
	s_and_b32 s4, vcc_lo, s2
	s_mov_b32 s2, -1
	s_and_saveexec_b32 s3, s4
	s_cbranch_execz .LBB6_2
; %bb.1:
	s_wait_loadcnt_dscnt 0x0
	v_cmp_neq_f32_e32 vcc_lo, 1.0, v3
	v_cmp_neq_f32_e64 s2, 0, v4
	s_wait_alu 0xfffe
	s_or_b32 s2, vcc_lo, s2
	s_wait_alu 0xfffe
	s_or_not1_b32 s2, s2, exec_lo
.LBB6_2:
	s_wait_alu 0xfffe
	s_or_b32 exec_lo, exec_lo, s3
	s_and_saveexec_b32 s3, s2
	s_cbranch_execz .LBB6_25
; %bb.3:
	s_load_b64 s[2:3], s[0:1], 0x18
	s_wait_kmcnt 0x0
	s_cmp_eq_u64 s[2:3], 0
	s_cbranch_scc1 .LBB6_5
; %bb.4:
	s_mov_b32 s4, ttmp9
	s_ashr_i32 s5, ttmp9, 31
	s_delay_alu instid0(SALU_CYCLE_1) | instskip(NEXT) | instid1(SALU_CYCLE_1)
	s_lshl_b64 s[4:5], s[4:5], 2
	s_add_nc_u64 s[2:3], s[2:3], s[4:5]
	s_load_b32 s2, s[2:3], 0x0
	s_wait_kmcnt 0x0
	s_sub_co_i32 s20, s2, s12
	s_branch .LBB6_6
.LBB6_5:
	s_mov_b32 s20, ttmp9
.LBB6_6:
	s_load_b32 s14, s[0:1], 0x40
	v_lshrrev_b32_e32 v5, 3, v0
	s_wait_kmcnt 0x0
	s_delay_alu instid0(VALU_DEP_1)
	v_cmp_gt_i32_e32 vcc_lo, s14, v5
	s_and_b32 exec_lo, exec_lo, vcc_lo
	s_cbranch_execz .LBB6_25
; %bb.7:
	s_load_b256 s[4:11], s[0:1], 0x20
	s_ashr_i32 s21, s20, 31
	v_mbcnt_lo_u32_b32 v9, -1, 0
	s_lshl_b64 s[2:3], s[20:21], 2
	s_load_b32 s24, s[0:1], 0x0
	v_dual_mov_b32 v6, 0 :: v_dual_and_b32 v7, 7, v0
	s_delay_alu instid0(VALU_DEP_2)
	v_xor_b32_e32 v10, 4, v9
	v_xor_b32_e32 v11, 2, v9
	v_xor_b32_e32 v12, 1, v9
	v_mul_lo_u32 v0, s14, v5
	v_mul_lo_u32 v15, s14, v7
	s_wait_loadcnt_dscnt 0x0
	v_cmp_eq_f32_e32 vcc_lo, 0, v3
	s_mov_b32 s15, 0
	s_mul_i32 s13, s20, s14
	s_wait_kmcnt 0x0
	s_add_nc_u64 s[18:19], s[4:5], s[2:3]
	s_load_b32 s21, s[18:19], 0x0
	s_clause 0x1
	s_load_b64 s[4:5], s[0:1], 0x58
	s_load_b64 s[16:17], s[0:1], 0x48
	s_add_nc_u64 s[0:1], s[6:7], s[2:3]
	s_add_nc_u64 s[2:3], s[18:19], 4
	s_wait_kmcnt 0x0
	s_sub_co_i32 s18, s21, s12
	s_cmp_eq_u64 s[6:7], 0
	s_mul_u64 s[6:7], s[14:15], s[14:15]
	s_wait_alu 0xfffe
	s_cselect_b32 s1, s3, s1
	s_cselect_b32 s0, s2, s0
	v_cmp_gt_i32_e64 s3, 32, v10
	s_load_b32 s19, s[0:1], 0x0
	v_cmp_eq_f32_e64 s2, 0, v4
	v_cmp_gt_u32_e64 s0, s14, v7
	v_cmp_eq_u32_e64 s1, 7, v7
	v_cndmask_b32_e64 v10, v9, v10, s3
	v_cmp_gt_i32_e64 s3, 32, v11
	s_delay_alu instid0(VALU_DEP_2) | instskip(SKIP_1) | instid1(VALU_DEP_2)
	v_lshlrev_b32_e32 v16, 2, v10
	s_wait_alu 0xf1ff
	v_cndmask_b32_e64 v11, v9, v11, s3
	v_cmp_gt_i32_e64 s3, 32, v12
	s_delay_alu instid0(VALU_DEP_2) | instskip(SKIP_1) | instid1(VALU_DEP_2)
	v_dual_mov_b32 v8, v6 :: v_dual_lshlrev_b32 v17, 2, v11
	s_wait_alu 0xf1ff
	v_cndmask_b32_e64 v9, v9, v12, s3
	s_wait_kmcnt 0x0
	s_sub_co_i32 s22, s19, s12
	s_cmp_lt_i32 s21, s19
	s_delay_alu instid0(VALU_DEP_1)
	v_lshlrev_b32_e32 v18, 2, v9
	s_cselect_b32 s23, -1, 0
	s_cmp_lg_u32 s24, 0
	s_cselect_b32 s24, -1, 0
	s_ashr_i32 s19, s18, 31
	s_and_b32 s25, vcc_lo, s2
	s_mul_u64 s[2:3], s[18:19], s[6:7]
	s_lshl_b32 s19, s14, 3
	s_branch .LBB6_9
.LBB6_8:                                ;   in Loop: Header=BB6_9 Depth=1
	s_wait_alu 0xfffe
	s_or_b32 exec_lo, exec_lo, s20
	v_add_nc_u32_e32 v5, 8, v5
	v_add_nc_u32_e32 v0, s19, v0
	s_delay_alu instid0(VALU_DEP_2)
	v_cmp_le_i32_e32 vcc_lo, s14, v5
	s_or_b32 s15, vcc_lo, s15
	s_wait_alu 0xfffe
	s_and_not1_b32 exec_lo, exec_lo, s15
	s_cbranch_execz .LBB6_25
.LBB6_9:                                ; =>This Loop Header: Depth=1
                                        ;     Child Loop BB6_13 Depth 2
                                        ;       Child Loop BB6_16 Depth 3
	v_dual_mov_b32 v19, 0 :: v_dual_mov_b32 v20, 0
	s_and_not1_b32 vcc_lo, exec_lo, s23
	s_wait_alu 0xfffe
	s_cbranch_vccnz .LBB6_20
; %bb.10:                               ;   in Loop: Header=BB6_9 Depth=1
	v_ashrrev_i32_e32 v9, 31, v0
	v_add_co_u32 v21, vcc_lo, s2, v0
	v_dual_mov_b32 v19, 0 :: v_dual_mov_b32 v20, 0
	s_wait_alu 0xfffd
	s_delay_alu instid0(VALU_DEP_3)
	v_add_co_ci_u32_e64 v22, null, s3, v9, vcc_lo
	s_mov_b32 s20, s18
	s_branch .LBB6_13
.LBB6_11:                               ;   in Loop: Header=BB6_13 Depth=2
	s_or_b32 exec_lo, exec_lo, s21
.LBB6_12:                               ;   in Loop: Header=BB6_13 Depth=2
	s_wait_alu 0xfffe
	s_or_b32 exec_lo, exec_lo, s26
	v_add_co_u32 v21, vcc_lo, v21, s6
	s_wait_alu 0xfffd
	v_add_co_ci_u32_e64 v22, null, s7, v22, vcc_lo
	s_add_co_i32 s20, s20, 1
	s_wait_alu 0xfffe
	s_cmp_ge_i32 s20, s22
	s_cbranch_scc1 .LBB6_20
.LBB6_13:                               ;   Parent Loop BB6_9 Depth=1
                                        ; =>  This Loop Header: Depth=2
                                        ;       Child Loop BB6_16 Depth 3
	s_and_saveexec_b32 s26, s0
	s_cbranch_execz .LBB6_12
; %bb.14:                               ;   in Loop: Header=BB6_13 Depth=2
	s_wait_alu 0xfffe
	s_ashr_i32 s21, s20, 31
	s_wait_dscnt 0x1
	v_mad_co_u64_u32 v[9:10], null, s6, s20, v[5:6]
	s_wait_alu 0xfffe
	s_lshl_b64 s[28:29], s[20:21], 2
	s_mul_i32 s21, s6, s21
	s_wait_alu 0xfffe
	s_add_nc_u64 s[28:29], s[8:9], s[28:29]
	s_wait_dscnt 0x0
	v_dual_mov_b32 v23, v15 :: v_dual_mov_b32 v12, v8
	s_load_b32 s27, s[28:29], 0x0
	s_mul_i32 s28, s7, s20
	v_mov_b32_e32 v11, v7
	s_wait_alu 0xfffe
	v_add3_u32 v10, s21, s28, v10
	s_wait_kmcnt 0x0
	s_sub_co_i32 s21, s27, s12
	s_wait_alu 0xfffe
	s_mul_i32 s27, s21, s14
	s_mov_b32 s21, 0
	s_branch .LBB6_16
.LBB6_15:                               ;   in Loop: Header=BB6_16 Depth=3
	v_add_nc_u32_e32 v24, s27, v11
	s_delay_alu instid0(VALU_DEP_2) | instskip(SKIP_1) | instid1(VALU_DEP_3)
	v_lshlrev_b64_e32 v[13:14], 3, v[13:14]
	v_add_nc_u32_e32 v23, s19, v23
	v_ashrrev_i32_e32 v25, 31, v24
	s_delay_alu instid0(VALU_DEP_3) | instskip(SKIP_1) | instid1(VALU_DEP_4)
	v_add_co_u32 v13, vcc_lo, s10, v13
	s_wait_alu 0xfffd
	v_add_co_ci_u32_e64 v14, null, s11, v14, vcc_lo
	s_delay_alu instid0(VALU_DEP_3) | instskip(NEXT) | instid1(VALU_DEP_1)
	v_lshlrev_b64_e32 v[24:25], 3, v[24:25]
	v_add_co_u32 v24, vcc_lo, s16, v24
	s_wait_alu 0xfffd
	s_delay_alu instid0(VALU_DEP_2)
	v_add_co_ci_u32_e64 v25, null, s17, v25, vcc_lo
	global_load_b64 v[13:14], v[13:14], off
	global_load_b64 v[24:25], v[24:25], off
	v_add_co_u32 v11, vcc_lo, v11, 8
	s_wait_alu 0xfffd
	v_add_co_ci_u32_e64 v12, null, 0, v12, vcc_lo
	s_delay_alu instid0(VALU_DEP_2) | instskip(SKIP_4) | instid1(VALU_DEP_2)
	v_cmp_le_i32_e32 vcc_lo, s14, v11
	s_or_b32 s21, vcc_lo, s21
	s_wait_loadcnt 0x0
	v_fmac_f32_e32 v20, v13, v24
	v_fmac_f32_e32 v19, v14, v24
	v_fma_f32 v20, -v14, v25, v20
	s_delay_alu instid0(VALU_DEP_2)
	v_fmac_f32_e32 v19, v13, v25
	s_wait_alu 0xfffe
	s_and_not1_b32 exec_lo, exec_lo, s21
	s_cbranch_execz .LBB6_11
.LBB6_16:                               ;   Parent Loop BB6_9 Depth=1
                                        ;     Parent Loop BB6_13 Depth=2
                                        ; =>    This Inner Loop Header: Depth=3
	s_and_b32 vcc_lo, exec_lo, s24
	s_wait_alu 0xfffe
	s_cbranch_vccz .LBB6_18
; %bb.17:                               ;   in Loop: Header=BB6_16 Depth=3
	v_ashrrev_i32_e32 v14, 31, v23
	v_add_co_u32 v13, vcc_lo, v9, v23
	s_wait_alu 0xfffd
	s_delay_alu instid0(VALU_DEP_2)
	v_add_co_ci_u32_e64 v14, null, v10, v14, vcc_lo
	s_cbranch_execnz .LBB6_15
	s_branch .LBB6_19
.LBB6_18:                               ;   in Loop: Header=BB6_16 Depth=3
                                        ; implicit-def: $vgpr13_vgpr14
.LBB6_19:                               ;   in Loop: Header=BB6_16 Depth=3
	v_add_co_u32 v13, vcc_lo, v21, v11
	s_wait_alu 0xfffd
	v_add_co_ci_u32_e64 v14, null, v22, v12, vcc_lo
	s_branch .LBB6_15
.LBB6_20:                               ;   in Loop: Header=BB6_9 Depth=1
	ds_bpermute_b32 v9, v16, v20
	s_wait_dscnt 0x2
	ds_bpermute_b32 v10, v16, v19
	s_wait_dscnt 0x0
	v_dual_add_f32 v9, v20, v9 :: v_dual_add_f32 v10, v19, v10
	ds_bpermute_b32 v11, v17, v9
	ds_bpermute_b32 v12, v17, v10
	s_wait_dscnt 0x1
	v_add_f32_e32 v9, v9, v11
	s_wait_dscnt 0x0
	v_add_f32_e32 v11, v10, v12
	ds_bpermute_b32 v10, v18, v9
	ds_bpermute_b32 v12, v18, v11
	s_and_saveexec_b32 s20, s1
	s_cbranch_execz .LBB6_8
; %bb.21:                               ;   in Loop: Header=BB6_9 Depth=1
	s_wait_dscnt 0x0
	v_dual_add_f32 v11, v11, v12 :: v_dual_add_f32 v12, v9, v10
	s_delay_alu instid0(VALU_DEP_1) | instskip(SKIP_1) | instid1(VALU_DEP_2)
	v_mul_f32_e64 v9, v11, -v2
	v_dual_mul_f32 v10, v1, v11 :: v_dual_add_nc_u32 v11, s13, v5
	v_fmac_f32_e32 v9, v1, v12
	s_delay_alu instid0(VALU_DEP_2) | instskip(NEXT) | instid1(VALU_DEP_3)
	v_fmac_f32_e32 v10, v2, v12
	v_ashrrev_i32_e32 v12, 31, v11
	s_and_saveexec_b32 s21, s25
	s_wait_alu 0xfffe
	s_xor_b32 s21, exec_lo, s21
	s_cbranch_execz .LBB6_23
; %bb.22:                               ;   in Loop: Header=BB6_9 Depth=1
	v_lshlrev_b64_e32 v[11:12], 3, v[11:12]
	s_delay_alu instid0(VALU_DEP_1) | instskip(SKIP_1) | instid1(VALU_DEP_2)
	v_add_co_u32 v11, vcc_lo, s4, v11
	s_wait_alu 0xfffd
	v_add_co_ci_u32_e64 v12, null, s5, v12, vcc_lo
	global_store_b64 v[11:12], v[9:10], off
                                        ; implicit-def: $vgpr11
                                        ; implicit-def: $vgpr9
.LBB6_23:                               ;   in Loop: Header=BB6_9 Depth=1
	s_wait_alu 0xfffe
	s_and_not1_saveexec_b32 s21, s21
	s_cbranch_execz .LBB6_8
; %bb.24:                               ;   in Loop: Header=BB6_9 Depth=1
	v_lshlrev_b64_e32 v[11:12], 3, v[11:12]
	s_delay_alu instid0(VALU_DEP_1) | instskip(SKIP_1) | instid1(VALU_DEP_2)
	v_add_co_u32 v11, vcc_lo, s4, v11
	s_wait_alu 0xfffd
	v_add_co_ci_u32_e64 v12, null, s5, v12, vcc_lo
	global_load_b64 v[13:14], v[11:12], off
	s_wait_loadcnt 0x0
	v_fmac_f32_e32 v9, v3, v13
	v_fmac_f32_e32 v10, v4, v13
	s_delay_alu instid0(VALU_DEP_2) | instskip(NEXT) | instid1(VALU_DEP_2)
	v_fma_f32 v9, -v4, v14, v9
	v_fmac_f32_e32 v10, v3, v14
	global_store_b64 v[11:12], v[9:10], off
	s_branch .LBB6_8
.LBB6_25:
	s_endpgm
	.section	.rodata,"a",@progbits
	.p2align	6, 0x0
	.amdhsa_kernel _ZN9rocsparseL22bsrxmvn_general_kernelILj64ELj8E21rocsparse_complex_numIfEiiS2_S2_S2_EEv20rocsparse_direction_NS_24const_host_device_scalarIT1_EET3_PKS7_PKT2_SC_S9_PKT4_S7_PKT5_S6_PT6_21rocsparse_index_base_b
		.amdhsa_group_segment_fixed_size 0
		.amdhsa_private_segment_fixed_size 0
		.amdhsa_kernarg_size 104
		.amdhsa_user_sgpr_count 2
		.amdhsa_user_sgpr_dispatch_ptr 0
		.amdhsa_user_sgpr_queue_ptr 0
		.amdhsa_user_sgpr_kernarg_segment_ptr 1
		.amdhsa_user_sgpr_dispatch_id 0
		.amdhsa_user_sgpr_private_segment_size 0
		.amdhsa_wavefront_size32 1
		.amdhsa_uses_dynamic_stack 0
		.amdhsa_enable_private_segment 0
		.amdhsa_system_sgpr_workgroup_id_x 1
		.amdhsa_system_sgpr_workgroup_id_y 0
		.amdhsa_system_sgpr_workgroup_id_z 0
		.amdhsa_system_sgpr_workgroup_info 0
		.amdhsa_system_vgpr_workitem_id 0
		.amdhsa_next_free_vgpr 26
		.amdhsa_next_free_sgpr 30
		.amdhsa_reserve_vcc 1
		.amdhsa_float_round_mode_32 0
		.amdhsa_float_round_mode_16_64 0
		.amdhsa_float_denorm_mode_32 3
		.amdhsa_float_denorm_mode_16_64 3
		.amdhsa_fp16_overflow 0
		.amdhsa_workgroup_processor_mode 1
		.amdhsa_memory_ordered 1
		.amdhsa_forward_progress 1
		.amdhsa_inst_pref_size 12
		.amdhsa_round_robin_scheduling 0
		.amdhsa_exception_fp_ieee_invalid_op 0
		.amdhsa_exception_fp_denorm_src 0
		.amdhsa_exception_fp_ieee_div_zero 0
		.amdhsa_exception_fp_ieee_overflow 0
		.amdhsa_exception_fp_ieee_underflow 0
		.amdhsa_exception_fp_ieee_inexact 0
		.amdhsa_exception_int_div_zero 0
	.end_amdhsa_kernel
	.section	.text._ZN9rocsparseL22bsrxmvn_general_kernelILj64ELj8E21rocsparse_complex_numIfEiiS2_S2_S2_EEv20rocsparse_direction_NS_24const_host_device_scalarIT1_EET3_PKS7_PKT2_SC_S9_PKT4_S7_PKT5_S6_PT6_21rocsparse_index_base_b,"axG",@progbits,_ZN9rocsparseL22bsrxmvn_general_kernelILj64ELj8E21rocsparse_complex_numIfEiiS2_S2_S2_EEv20rocsparse_direction_NS_24const_host_device_scalarIT1_EET3_PKS7_PKT2_SC_S9_PKT4_S7_PKT5_S6_PT6_21rocsparse_index_base_b,comdat
.Lfunc_end6:
	.size	_ZN9rocsparseL22bsrxmvn_general_kernelILj64ELj8E21rocsparse_complex_numIfEiiS2_S2_S2_EEv20rocsparse_direction_NS_24const_host_device_scalarIT1_EET3_PKS7_PKT2_SC_S9_PKT4_S7_PKT5_S6_PT6_21rocsparse_index_base_b, .Lfunc_end6-_ZN9rocsparseL22bsrxmvn_general_kernelILj64ELj8E21rocsparse_complex_numIfEiiS2_S2_S2_EEv20rocsparse_direction_NS_24const_host_device_scalarIT1_EET3_PKS7_PKT2_SC_S9_PKT4_S7_PKT5_S6_PT6_21rocsparse_index_base_b
                                        ; -- End function
	.set _ZN9rocsparseL22bsrxmvn_general_kernelILj64ELj8E21rocsparse_complex_numIfEiiS2_S2_S2_EEv20rocsparse_direction_NS_24const_host_device_scalarIT1_EET3_PKS7_PKT2_SC_S9_PKT4_S7_PKT5_S6_PT6_21rocsparse_index_base_b.num_vgpr, 26
	.set _ZN9rocsparseL22bsrxmvn_general_kernelILj64ELj8E21rocsparse_complex_numIfEiiS2_S2_S2_EEv20rocsparse_direction_NS_24const_host_device_scalarIT1_EET3_PKS7_PKT2_SC_S9_PKT4_S7_PKT5_S6_PT6_21rocsparse_index_base_b.num_agpr, 0
	.set _ZN9rocsparseL22bsrxmvn_general_kernelILj64ELj8E21rocsparse_complex_numIfEiiS2_S2_S2_EEv20rocsparse_direction_NS_24const_host_device_scalarIT1_EET3_PKS7_PKT2_SC_S9_PKT4_S7_PKT5_S6_PT6_21rocsparse_index_base_b.numbered_sgpr, 30
	.set _ZN9rocsparseL22bsrxmvn_general_kernelILj64ELj8E21rocsparse_complex_numIfEiiS2_S2_S2_EEv20rocsparse_direction_NS_24const_host_device_scalarIT1_EET3_PKS7_PKT2_SC_S9_PKT4_S7_PKT5_S6_PT6_21rocsparse_index_base_b.num_named_barrier, 0
	.set _ZN9rocsparseL22bsrxmvn_general_kernelILj64ELj8E21rocsparse_complex_numIfEiiS2_S2_S2_EEv20rocsparse_direction_NS_24const_host_device_scalarIT1_EET3_PKS7_PKT2_SC_S9_PKT4_S7_PKT5_S6_PT6_21rocsparse_index_base_b.private_seg_size, 0
	.set _ZN9rocsparseL22bsrxmvn_general_kernelILj64ELj8E21rocsparse_complex_numIfEiiS2_S2_S2_EEv20rocsparse_direction_NS_24const_host_device_scalarIT1_EET3_PKS7_PKT2_SC_S9_PKT4_S7_PKT5_S6_PT6_21rocsparse_index_base_b.uses_vcc, 1
	.set _ZN9rocsparseL22bsrxmvn_general_kernelILj64ELj8E21rocsparse_complex_numIfEiiS2_S2_S2_EEv20rocsparse_direction_NS_24const_host_device_scalarIT1_EET3_PKS7_PKT2_SC_S9_PKT4_S7_PKT5_S6_PT6_21rocsparse_index_base_b.uses_flat_scratch, 0
	.set _ZN9rocsparseL22bsrxmvn_general_kernelILj64ELj8E21rocsparse_complex_numIfEiiS2_S2_S2_EEv20rocsparse_direction_NS_24const_host_device_scalarIT1_EET3_PKS7_PKT2_SC_S9_PKT4_S7_PKT5_S6_PT6_21rocsparse_index_base_b.has_dyn_sized_stack, 0
	.set _ZN9rocsparseL22bsrxmvn_general_kernelILj64ELj8E21rocsparse_complex_numIfEiiS2_S2_S2_EEv20rocsparse_direction_NS_24const_host_device_scalarIT1_EET3_PKS7_PKT2_SC_S9_PKT4_S7_PKT5_S6_PT6_21rocsparse_index_base_b.has_recursion, 0
	.set _ZN9rocsparseL22bsrxmvn_general_kernelILj64ELj8E21rocsparse_complex_numIfEiiS2_S2_S2_EEv20rocsparse_direction_NS_24const_host_device_scalarIT1_EET3_PKS7_PKT2_SC_S9_PKT4_S7_PKT5_S6_PT6_21rocsparse_index_base_b.has_indirect_call, 0
	.section	.AMDGPU.csdata,"",@progbits
; Kernel info:
; codeLenInByte = 1412
; TotalNumSgprs: 32
; NumVgprs: 26
; ScratchSize: 0
; MemoryBound: 0
; FloatMode: 240
; IeeeMode: 1
; LDSByteSize: 0 bytes/workgroup (compile time only)
; SGPRBlocks: 0
; VGPRBlocks: 3
; NumSGPRsForWavesPerEU: 32
; NumVGPRsForWavesPerEU: 26
; Occupancy: 16
; WaveLimiterHint : 1
; COMPUTE_PGM_RSRC2:SCRATCH_EN: 0
; COMPUTE_PGM_RSRC2:USER_SGPR: 2
; COMPUTE_PGM_RSRC2:TRAP_HANDLER: 0
; COMPUTE_PGM_RSRC2:TGID_X_EN: 1
; COMPUTE_PGM_RSRC2:TGID_Y_EN: 0
; COMPUTE_PGM_RSRC2:TGID_Z_EN: 0
; COMPUTE_PGM_RSRC2:TIDIG_COMP_CNT: 0
	.section	.text._ZN9rocsparseL22bsrxmvn_general_kernelILj256ELj16E21rocsparse_complex_numIfEiiS2_S2_S2_EEv20rocsparse_direction_NS_24const_host_device_scalarIT1_EET3_PKS7_PKT2_SC_S9_PKT4_S7_PKT5_S6_PT6_21rocsparse_index_base_b,"axG",@progbits,_ZN9rocsparseL22bsrxmvn_general_kernelILj256ELj16E21rocsparse_complex_numIfEiiS2_S2_S2_EEv20rocsparse_direction_NS_24const_host_device_scalarIT1_EET3_PKS7_PKT2_SC_S9_PKT4_S7_PKT5_S6_PT6_21rocsparse_index_base_b,comdat
	.globl	_ZN9rocsparseL22bsrxmvn_general_kernelILj256ELj16E21rocsparse_complex_numIfEiiS2_S2_S2_EEv20rocsparse_direction_NS_24const_host_device_scalarIT1_EET3_PKS7_PKT2_SC_S9_PKT4_S7_PKT5_S6_PT6_21rocsparse_index_base_b ; -- Begin function _ZN9rocsparseL22bsrxmvn_general_kernelILj256ELj16E21rocsparse_complex_numIfEiiS2_S2_S2_EEv20rocsparse_direction_NS_24const_host_device_scalarIT1_EET3_PKS7_PKT2_SC_S9_PKT4_S7_PKT5_S6_PT6_21rocsparse_index_base_b
	.p2align	8
	.type	_ZN9rocsparseL22bsrxmvn_general_kernelILj256ELj16E21rocsparse_complex_numIfEiiS2_S2_S2_EEv20rocsparse_direction_NS_24const_host_device_scalarIT1_EET3_PKS7_PKT2_SC_S9_PKT4_S7_PKT5_S6_PT6_21rocsparse_index_base_b,@function
_ZN9rocsparseL22bsrxmvn_general_kernelILj256ELj16E21rocsparse_complex_numIfEiiS2_S2_S2_EEv20rocsparse_direction_NS_24const_host_device_scalarIT1_EET3_PKS7_PKT2_SC_S9_PKT4_S7_PKT5_S6_PT6_21rocsparse_index_base_b: ; @_ZN9rocsparseL22bsrxmvn_general_kernelILj256ELj16E21rocsparse_complex_numIfEiiS2_S2_S2_EEv20rocsparse_direction_NS_24const_host_device_scalarIT1_EET3_PKS7_PKT2_SC_S9_PKT4_S7_PKT5_S6_PT6_21rocsparse_index_base_b
; %bb.0:
	s_clause 0x2
	s_load_b64 s[12:13], s[0:1], 0x60
	s_load_b64 s[2:3], s[0:1], 0x8
	;; [unrolled: 1-line block ×3, first 2 shown]
	s_add_nc_u64 s[6:7], s[0:1], 8
	s_wait_kmcnt 0x0
	s_bitcmp1_b32 s13, 0
	s_cselect_b32 s2, s6, s2
	s_cselect_b32 s3, s7, s3
	s_delay_alu instid0(SALU_CYCLE_1)
	v_dual_mov_b32 v1, s2 :: v_dual_mov_b32 v2, s3
	s_add_nc_u64 s[2:3], s[0:1], 0x50
	s_wait_alu 0xfffe
	s_cselect_b32 s2, s2, s4
	s_cselect_b32 s3, s3, s5
	flat_load_b64 v[1:2], v[1:2]
	s_wait_alu 0xfffe
	v_dual_mov_b32 v3, s2 :: v_dual_mov_b32 v4, s3
	flat_load_b64 v[3:4], v[3:4]
	s_wait_loadcnt_dscnt 0x101
	v_cmp_eq_f32_e32 vcc_lo, 0, v1
	v_cmp_eq_f32_e64 s2, 0, v2
	s_and_b32 s4, vcc_lo, s2
	s_mov_b32 s2, -1
	s_and_saveexec_b32 s3, s4
	s_cbranch_execz .LBB7_2
; %bb.1:
	s_wait_loadcnt_dscnt 0x0
	v_cmp_neq_f32_e32 vcc_lo, 1.0, v3
	v_cmp_neq_f32_e64 s2, 0, v4
	s_wait_alu 0xfffe
	s_or_b32 s2, vcc_lo, s2
	s_wait_alu 0xfffe
	s_or_not1_b32 s2, s2, exec_lo
.LBB7_2:
	s_wait_alu 0xfffe
	s_or_b32 exec_lo, exec_lo, s3
	s_and_saveexec_b32 s3, s2
	s_cbranch_execz .LBB7_25
; %bb.3:
	s_load_b64 s[2:3], s[0:1], 0x18
	s_wait_kmcnt 0x0
	s_cmp_eq_u64 s[2:3], 0
	s_cbranch_scc1 .LBB7_5
; %bb.4:
	s_mov_b32 s4, ttmp9
	s_ashr_i32 s5, ttmp9, 31
	s_delay_alu instid0(SALU_CYCLE_1) | instskip(NEXT) | instid1(SALU_CYCLE_1)
	s_lshl_b64 s[4:5], s[4:5], 2
	s_add_nc_u64 s[2:3], s[2:3], s[4:5]
	s_load_b32 s2, s[2:3], 0x0
	s_wait_kmcnt 0x0
	s_sub_co_i32 s18, s2, s12
	s_branch .LBB7_6
.LBB7_5:
	s_mov_b32 s18, ttmp9
.LBB7_6:
	s_load_b32 s14, s[0:1], 0x40
	v_lshrrev_b32_e32 v5, 4, v0
	s_wait_kmcnt 0x0
	s_delay_alu instid0(VALU_DEP_1)
	v_cmp_gt_i32_e32 vcc_lo, s14, v5
	s_and_b32 exec_lo, exec_lo, vcc_lo
	s_cbranch_execz .LBB7_25
; %bb.7:
	s_load_b256 s[4:11], s[0:1], 0x20
	s_ashr_i32 s19, s18, 31
	v_mbcnt_lo_u32_b32 v9, -1, 0
	s_lshl_b64 s[20:21], s[18:19], 2
	s_mul_i32 s13, s18, s14
	s_load_b32 s24, s[0:1], 0x0
	v_dual_mov_b32 v6, 0 :: v_dual_and_b32 v7, 15, v0
	v_xor_b32_e32 v10, 8, v9
	v_xor_b32_e32 v11, 4, v9
	;; [unrolled: 1-line block ×4, first 2 shown]
	v_mul_lo_u32 v0, s14, v5
	v_cmp_gt_i32_e64 s3, 32, v10
	v_mul_lo_u32 v15, s14, v7
	s_wait_loadcnt_dscnt 0x0
	v_cmp_eq_f32_e32 vcc_lo, 0, v3
	v_cmp_eq_f32_e64 s2, 0, v4
	s_mov_b32 s15, 0
	s_wait_alu 0xf1ff
	v_cndmask_b32_e64 v10, v9, v10, s3
	v_cmp_gt_i32_e64 s3, 32, v11
	s_wait_kmcnt 0x0
	s_add_nc_u64 s[22:23], s[4:5], s[20:21]
	s_load_b32 s19, s[22:23], 0x0
	s_clause 0x1
	s_load_b64 s[4:5], s[0:1], 0x58
	s_load_b64 s[16:17], s[0:1], 0x48
	s_add_nc_u64 s[0:1], s[6:7], s[20:21]
	s_add_nc_u64 s[20:21], s[22:23], 4
	v_cndmask_b32_e64 v11, v9, v11, s3
	v_cmp_gt_i32_e64 s3, 32, v12
	v_mov_b32_e32 v8, v6
	v_lshlrev_b32_e32 v16, 2, v10
	s_delay_alu instid0(VALU_DEP_4) | instskip(SKIP_3) | instid1(VALU_DEP_2)
	v_lshlrev_b32_e32 v17, 2, v11
	s_wait_alu 0xf1ff
	v_cndmask_b32_e64 v12, v9, v12, s3
	v_cmp_gt_i32_e64 s3, 32, v13
	v_lshlrev_b32_e32 v18, 2, v12
	s_wait_alu 0xf1ff
	s_delay_alu instid0(VALU_DEP_2) | instskip(SKIP_3) | instid1(VALU_DEP_1)
	v_cndmask_b32_e64 v9, v9, v13, s3
	s_wait_kmcnt 0x0
	s_sub_co_i32 s18, s19, s12
	s_cmp_eq_u64 s[6:7], 0
	v_lshlrev_b32_e32 v19, 2, v9
	s_cselect_b32 s1, s21, s1
	s_cselect_b32 s0, s20, s0
	s_mul_u64 s[6:7], s[14:15], s[14:15]
	s_load_b32 s20, s[0:1], 0x0
	v_cmp_gt_u32_e64 s0, s14, v7
	v_cmp_eq_u32_e64 s1, 15, v7
	s_wait_kmcnt 0x0
	s_sub_co_i32 s22, s20, s12
	s_cmp_lt_i32 s19, s20
	s_cselect_b32 s23, -1, 0
	s_cmp_lg_u32 s24, 0
	s_cselect_b32 s24, -1, 0
	s_ashr_i32 s19, s18, 31
	s_and_b32 s25, vcc_lo, s2
	s_mul_u64 s[2:3], s[18:19], s[6:7]
	s_lshl_b32 s19, s14, 4
	s_branch .LBB7_9
.LBB7_8:                                ;   in Loop: Header=BB7_9 Depth=1
	s_wait_alu 0xfffe
	s_or_b32 exec_lo, exec_lo, s20
	v_add_nc_u32_e32 v5, 16, v5
	v_add_nc_u32_e32 v0, s19, v0
	s_delay_alu instid0(VALU_DEP_2)
	v_cmp_le_i32_e32 vcc_lo, s14, v5
	s_or_b32 s15, vcc_lo, s15
	s_wait_alu 0xfffe
	s_and_not1_b32 exec_lo, exec_lo, s15
	s_cbranch_execz .LBB7_25
.LBB7_9:                                ; =>This Loop Header: Depth=1
                                        ;     Child Loop BB7_13 Depth 2
                                        ;       Child Loop BB7_16 Depth 3
	v_dual_mov_b32 v20, 0 :: v_dual_mov_b32 v21, 0
	s_and_not1_b32 vcc_lo, exec_lo, s23
	s_wait_alu 0xfffe
	s_cbranch_vccnz .LBB7_20
; %bb.10:                               ;   in Loop: Header=BB7_9 Depth=1
	v_ashrrev_i32_e32 v9, 31, v0
	v_add_co_u32 v22, vcc_lo, s2, v0
	v_dual_mov_b32 v20, 0 :: v_dual_mov_b32 v21, 0
	s_wait_alu 0xfffd
	s_delay_alu instid0(VALU_DEP_3)
	v_add_co_ci_u32_e64 v23, null, s3, v9, vcc_lo
	s_mov_b32 s20, s18
	s_branch .LBB7_13
.LBB7_11:                               ;   in Loop: Header=BB7_13 Depth=2
	s_or_b32 exec_lo, exec_lo, s21
.LBB7_12:                               ;   in Loop: Header=BB7_13 Depth=2
	s_wait_alu 0xfffe
	s_or_b32 exec_lo, exec_lo, s26
	v_add_co_u32 v22, vcc_lo, v22, s6
	s_wait_alu 0xfffd
	v_add_co_ci_u32_e64 v23, null, s7, v23, vcc_lo
	s_add_co_i32 s20, s20, 1
	s_wait_alu 0xfffe
	s_cmp_ge_i32 s20, s22
	s_cbranch_scc1 .LBB7_20
.LBB7_13:                               ;   Parent Loop BB7_9 Depth=1
                                        ; =>  This Loop Header: Depth=2
                                        ;       Child Loop BB7_16 Depth 3
	s_and_saveexec_b32 s26, s0
	s_cbranch_execz .LBB7_12
; %bb.14:                               ;   in Loop: Header=BB7_13 Depth=2
	s_wait_alu 0xfffe
	s_ashr_i32 s21, s20, 31
	s_wait_dscnt 0x1
	v_mad_co_u64_u32 v[9:10], null, s6, s20, v[5:6]
	s_wait_alu 0xfffe
	s_lshl_b64 s[28:29], s[20:21], 2
	s_mul_i32 s21, s6, s21
	s_wait_alu 0xfffe
	s_add_nc_u64 s[28:29], s[8:9], s[28:29]
	s_wait_dscnt 0x0
	v_mov_b32_e32 v12, v8
	s_load_b32 s27, s[28:29], 0x0
	s_mul_i32 s28, s7, s20
	v_dual_mov_b32 v24, v15 :: v_dual_mov_b32 v11, v7
	s_wait_alu 0xfffe
	v_add3_u32 v10, s21, s28, v10
	s_wait_kmcnt 0x0
	s_sub_co_i32 s21, s27, s12
	s_wait_alu 0xfffe
	s_mul_i32 s27, s21, s14
	s_mov_b32 s21, 0
	s_branch .LBB7_16
.LBB7_15:                               ;   in Loop: Header=BB7_16 Depth=3
	v_add_nc_u32_e32 v25, s27, v11
	s_delay_alu instid0(VALU_DEP_2) | instskip(SKIP_1) | instid1(VALU_DEP_3)
	v_lshlrev_b64_e32 v[13:14], 3, v[13:14]
	v_add_nc_u32_e32 v24, s19, v24
	v_ashrrev_i32_e32 v26, 31, v25
	s_delay_alu instid0(VALU_DEP_3) | instskip(SKIP_1) | instid1(VALU_DEP_4)
	v_add_co_u32 v13, vcc_lo, s10, v13
	s_wait_alu 0xfffd
	v_add_co_ci_u32_e64 v14, null, s11, v14, vcc_lo
	s_delay_alu instid0(VALU_DEP_3) | instskip(NEXT) | instid1(VALU_DEP_1)
	v_lshlrev_b64_e32 v[25:26], 3, v[25:26]
	v_add_co_u32 v25, vcc_lo, s16, v25
	s_wait_alu 0xfffd
	s_delay_alu instid0(VALU_DEP_2)
	v_add_co_ci_u32_e64 v26, null, s17, v26, vcc_lo
	global_load_b64 v[13:14], v[13:14], off
	global_load_b64 v[25:26], v[25:26], off
	v_add_co_u32 v11, vcc_lo, v11, 16
	s_wait_alu 0xfffd
	v_add_co_ci_u32_e64 v12, null, 0, v12, vcc_lo
	s_delay_alu instid0(VALU_DEP_2) | instskip(SKIP_4) | instid1(VALU_DEP_2)
	v_cmp_le_i32_e32 vcc_lo, s14, v11
	s_or_b32 s21, vcc_lo, s21
	s_wait_loadcnt 0x0
	v_fmac_f32_e32 v21, v13, v25
	v_fmac_f32_e32 v20, v14, v25
	v_fma_f32 v21, -v14, v26, v21
	s_delay_alu instid0(VALU_DEP_2)
	v_fmac_f32_e32 v20, v13, v26
	s_wait_alu 0xfffe
	s_and_not1_b32 exec_lo, exec_lo, s21
	s_cbranch_execz .LBB7_11
.LBB7_16:                               ;   Parent Loop BB7_9 Depth=1
                                        ;     Parent Loop BB7_13 Depth=2
                                        ; =>    This Inner Loop Header: Depth=3
	s_and_b32 vcc_lo, exec_lo, s24
	s_wait_alu 0xfffe
	s_cbranch_vccz .LBB7_18
; %bb.17:                               ;   in Loop: Header=BB7_16 Depth=3
	v_ashrrev_i32_e32 v14, 31, v24
	v_add_co_u32 v13, vcc_lo, v9, v24
	s_wait_alu 0xfffd
	s_delay_alu instid0(VALU_DEP_2)
	v_add_co_ci_u32_e64 v14, null, v10, v14, vcc_lo
	s_cbranch_execnz .LBB7_15
	s_branch .LBB7_19
.LBB7_18:                               ;   in Loop: Header=BB7_16 Depth=3
                                        ; implicit-def: $vgpr13_vgpr14
.LBB7_19:                               ;   in Loop: Header=BB7_16 Depth=3
	v_add_co_u32 v13, vcc_lo, v22, v11
	s_wait_alu 0xfffd
	v_add_co_ci_u32_e64 v14, null, v23, v12, vcc_lo
	s_branch .LBB7_15
.LBB7_20:                               ;   in Loop: Header=BB7_9 Depth=1
	ds_bpermute_b32 v9, v16, v21
	s_wait_dscnt 0x2
	ds_bpermute_b32 v10, v16, v20
	s_wait_dscnt 0x0
	v_dual_add_f32 v9, v21, v9 :: v_dual_add_f32 v10, v20, v10
	ds_bpermute_b32 v11, v17, v9
	ds_bpermute_b32 v12, v17, v10
	s_wait_dscnt 0x0
	v_dual_add_f32 v9, v9, v11 :: v_dual_add_f32 v10, v10, v12
	ds_bpermute_b32 v11, v18, v9
	ds_bpermute_b32 v12, v18, v10
	s_wait_dscnt 0x1
	v_add_f32_e32 v9, v9, v11
	s_wait_dscnt 0x0
	v_add_f32_e32 v11, v10, v12
	ds_bpermute_b32 v10, v19, v9
	ds_bpermute_b32 v12, v19, v11
	s_and_saveexec_b32 s20, s1
	s_cbranch_execz .LBB7_8
; %bb.21:                               ;   in Loop: Header=BB7_9 Depth=1
	s_wait_dscnt 0x0
	v_dual_add_f32 v11, v11, v12 :: v_dual_add_f32 v12, v9, v10
	s_delay_alu instid0(VALU_DEP_1) | instskip(SKIP_1) | instid1(VALU_DEP_2)
	v_mul_f32_e64 v9, v11, -v2
	v_dual_mul_f32 v10, v1, v11 :: v_dual_add_nc_u32 v11, s13, v5
	v_fmac_f32_e32 v9, v1, v12
	s_delay_alu instid0(VALU_DEP_2) | instskip(NEXT) | instid1(VALU_DEP_3)
	v_fmac_f32_e32 v10, v2, v12
	v_ashrrev_i32_e32 v12, 31, v11
	s_and_saveexec_b32 s21, s25
	s_wait_alu 0xfffe
	s_xor_b32 s21, exec_lo, s21
	s_cbranch_execz .LBB7_23
; %bb.22:                               ;   in Loop: Header=BB7_9 Depth=1
	v_lshlrev_b64_e32 v[11:12], 3, v[11:12]
	s_delay_alu instid0(VALU_DEP_1) | instskip(SKIP_1) | instid1(VALU_DEP_2)
	v_add_co_u32 v11, vcc_lo, s4, v11
	s_wait_alu 0xfffd
	v_add_co_ci_u32_e64 v12, null, s5, v12, vcc_lo
	global_store_b64 v[11:12], v[9:10], off
                                        ; implicit-def: $vgpr11
                                        ; implicit-def: $vgpr9
.LBB7_23:                               ;   in Loop: Header=BB7_9 Depth=1
	s_wait_alu 0xfffe
	s_and_not1_saveexec_b32 s21, s21
	s_cbranch_execz .LBB7_8
; %bb.24:                               ;   in Loop: Header=BB7_9 Depth=1
	v_lshlrev_b64_e32 v[11:12], 3, v[11:12]
	s_delay_alu instid0(VALU_DEP_1) | instskip(SKIP_1) | instid1(VALU_DEP_2)
	v_add_co_u32 v11, vcc_lo, s4, v11
	s_wait_alu 0xfffd
	v_add_co_ci_u32_e64 v12, null, s5, v12, vcc_lo
	global_load_b64 v[13:14], v[11:12], off
	s_wait_loadcnt 0x0
	v_fmac_f32_e32 v9, v3, v13
	v_fmac_f32_e32 v10, v4, v13
	s_delay_alu instid0(VALU_DEP_2) | instskip(NEXT) | instid1(VALU_DEP_2)
	v_fma_f32 v9, -v4, v14, v9
	v_fmac_f32_e32 v10, v3, v14
	global_store_b64 v[11:12], v[9:10], off
	s_branch .LBB7_8
.LBB7_25:
	s_endpgm
	.section	.rodata,"a",@progbits
	.p2align	6, 0x0
	.amdhsa_kernel _ZN9rocsparseL22bsrxmvn_general_kernelILj256ELj16E21rocsparse_complex_numIfEiiS2_S2_S2_EEv20rocsparse_direction_NS_24const_host_device_scalarIT1_EET3_PKS7_PKT2_SC_S9_PKT4_S7_PKT5_S6_PT6_21rocsparse_index_base_b
		.amdhsa_group_segment_fixed_size 0
		.amdhsa_private_segment_fixed_size 0
		.amdhsa_kernarg_size 104
		.amdhsa_user_sgpr_count 2
		.amdhsa_user_sgpr_dispatch_ptr 0
		.amdhsa_user_sgpr_queue_ptr 0
		.amdhsa_user_sgpr_kernarg_segment_ptr 1
		.amdhsa_user_sgpr_dispatch_id 0
		.amdhsa_user_sgpr_private_segment_size 0
		.amdhsa_wavefront_size32 1
		.amdhsa_uses_dynamic_stack 0
		.amdhsa_enable_private_segment 0
		.amdhsa_system_sgpr_workgroup_id_x 1
		.amdhsa_system_sgpr_workgroup_id_y 0
		.amdhsa_system_sgpr_workgroup_id_z 0
		.amdhsa_system_sgpr_workgroup_info 0
		.amdhsa_system_vgpr_workitem_id 0
		.amdhsa_next_free_vgpr 27
		.amdhsa_next_free_sgpr 30
		.amdhsa_reserve_vcc 1
		.amdhsa_float_round_mode_32 0
		.amdhsa_float_round_mode_16_64 0
		.amdhsa_float_denorm_mode_32 3
		.amdhsa_float_denorm_mode_16_64 3
		.amdhsa_fp16_overflow 0
		.amdhsa_workgroup_processor_mode 1
		.amdhsa_memory_ordered 1
		.amdhsa_forward_progress 1
		.amdhsa_inst_pref_size 12
		.amdhsa_round_robin_scheduling 0
		.amdhsa_exception_fp_ieee_invalid_op 0
		.amdhsa_exception_fp_denorm_src 0
		.amdhsa_exception_fp_ieee_div_zero 0
		.amdhsa_exception_fp_ieee_overflow 0
		.amdhsa_exception_fp_ieee_underflow 0
		.amdhsa_exception_fp_ieee_inexact 0
		.amdhsa_exception_int_div_zero 0
	.end_amdhsa_kernel
	.section	.text._ZN9rocsparseL22bsrxmvn_general_kernelILj256ELj16E21rocsparse_complex_numIfEiiS2_S2_S2_EEv20rocsparse_direction_NS_24const_host_device_scalarIT1_EET3_PKS7_PKT2_SC_S9_PKT4_S7_PKT5_S6_PT6_21rocsparse_index_base_b,"axG",@progbits,_ZN9rocsparseL22bsrxmvn_general_kernelILj256ELj16E21rocsparse_complex_numIfEiiS2_S2_S2_EEv20rocsparse_direction_NS_24const_host_device_scalarIT1_EET3_PKS7_PKT2_SC_S9_PKT4_S7_PKT5_S6_PT6_21rocsparse_index_base_b,comdat
.Lfunc_end7:
	.size	_ZN9rocsparseL22bsrxmvn_general_kernelILj256ELj16E21rocsparse_complex_numIfEiiS2_S2_S2_EEv20rocsparse_direction_NS_24const_host_device_scalarIT1_EET3_PKS7_PKT2_SC_S9_PKT4_S7_PKT5_S6_PT6_21rocsparse_index_base_b, .Lfunc_end7-_ZN9rocsparseL22bsrxmvn_general_kernelILj256ELj16E21rocsparse_complex_numIfEiiS2_S2_S2_EEv20rocsparse_direction_NS_24const_host_device_scalarIT1_EET3_PKS7_PKT2_SC_S9_PKT4_S7_PKT5_S6_PT6_21rocsparse_index_base_b
                                        ; -- End function
	.set _ZN9rocsparseL22bsrxmvn_general_kernelILj256ELj16E21rocsparse_complex_numIfEiiS2_S2_S2_EEv20rocsparse_direction_NS_24const_host_device_scalarIT1_EET3_PKS7_PKT2_SC_S9_PKT4_S7_PKT5_S6_PT6_21rocsparse_index_base_b.num_vgpr, 27
	.set _ZN9rocsparseL22bsrxmvn_general_kernelILj256ELj16E21rocsparse_complex_numIfEiiS2_S2_S2_EEv20rocsparse_direction_NS_24const_host_device_scalarIT1_EET3_PKS7_PKT2_SC_S9_PKT4_S7_PKT5_S6_PT6_21rocsparse_index_base_b.num_agpr, 0
	.set _ZN9rocsparseL22bsrxmvn_general_kernelILj256ELj16E21rocsparse_complex_numIfEiiS2_S2_S2_EEv20rocsparse_direction_NS_24const_host_device_scalarIT1_EET3_PKS7_PKT2_SC_S9_PKT4_S7_PKT5_S6_PT6_21rocsparse_index_base_b.numbered_sgpr, 30
	.set _ZN9rocsparseL22bsrxmvn_general_kernelILj256ELj16E21rocsparse_complex_numIfEiiS2_S2_S2_EEv20rocsparse_direction_NS_24const_host_device_scalarIT1_EET3_PKS7_PKT2_SC_S9_PKT4_S7_PKT5_S6_PT6_21rocsparse_index_base_b.num_named_barrier, 0
	.set _ZN9rocsparseL22bsrxmvn_general_kernelILj256ELj16E21rocsparse_complex_numIfEiiS2_S2_S2_EEv20rocsparse_direction_NS_24const_host_device_scalarIT1_EET3_PKS7_PKT2_SC_S9_PKT4_S7_PKT5_S6_PT6_21rocsparse_index_base_b.private_seg_size, 0
	.set _ZN9rocsparseL22bsrxmvn_general_kernelILj256ELj16E21rocsparse_complex_numIfEiiS2_S2_S2_EEv20rocsparse_direction_NS_24const_host_device_scalarIT1_EET3_PKS7_PKT2_SC_S9_PKT4_S7_PKT5_S6_PT6_21rocsparse_index_base_b.uses_vcc, 1
	.set _ZN9rocsparseL22bsrxmvn_general_kernelILj256ELj16E21rocsparse_complex_numIfEiiS2_S2_S2_EEv20rocsparse_direction_NS_24const_host_device_scalarIT1_EET3_PKS7_PKT2_SC_S9_PKT4_S7_PKT5_S6_PT6_21rocsparse_index_base_b.uses_flat_scratch, 0
	.set _ZN9rocsparseL22bsrxmvn_general_kernelILj256ELj16E21rocsparse_complex_numIfEiiS2_S2_S2_EEv20rocsparse_direction_NS_24const_host_device_scalarIT1_EET3_PKS7_PKT2_SC_S9_PKT4_S7_PKT5_S6_PT6_21rocsparse_index_base_b.has_dyn_sized_stack, 0
	.set _ZN9rocsparseL22bsrxmvn_general_kernelILj256ELj16E21rocsparse_complex_numIfEiiS2_S2_S2_EEv20rocsparse_direction_NS_24const_host_device_scalarIT1_EET3_PKS7_PKT2_SC_S9_PKT4_S7_PKT5_S6_PT6_21rocsparse_index_base_b.has_recursion, 0
	.set _ZN9rocsparseL22bsrxmvn_general_kernelILj256ELj16E21rocsparse_complex_numIfEiiS2_S2_S2_EEv20rocsparse_direction_NS_24const_host_device_scalarIT1_EET3_PKS7_PKT2_SC_S9_PKT4_S7_PKT5_S6_PT6_21rocsparse_index_base_b.has_indirect_call, 0
	.section	.AMDGPU.csdata,"",@progbits
; Kernel info:
; codeLenInByte = 1456
; TotalNumSgprs: 32
; NumVgprs: 27
; ScratchSize: 0
; MemoryBound: 0
; FloatMode: 240
; IeeeMode: 1
; LDSByteSize: 0 bytes/workgroup (compile time only)
; SGPRBlocks: 0
; VGPRBlocks: 3
; NumSGPRsForWavesPerEU: 32
; NumVGPRsForWavesPerEU: 27
; Occupancy: 16
; WaveLimiterHint : 1
; COMPUTE_PGM_RSRC2:SCRATCH_EN: 0
; COMPUTE_PGM_RSRC2:USER_SGPR: 2
; COMPUTE_PGM_RSRC2:TRAP_HANDLER: 0
; COMPUTE_PGM_RSRC2:TGID_X_EN: 1
; COMPUTE_PGM_RSRC2:TGID_Y_EN: 0
; COMPUTE_PGM_RSRC2:TGID_Z_EN: 0
; COMPUTE_PGM_RSRC2:TIDIG_COMP_CNT: 0
	.section	.text._ZN9rocsparseL22bsrxmvn_general_kernelILj1024ELj32E21rocsparse_complex_numIfEiiS2_S2_S2_EEv20rocsparse_direction_NS_24const_host_device_scalarIT1_EET3_PKS7_PKT2_SC_S9_PKT4_S7_PKT5_S6_PT6_21rocsparse_index_base_b,"axG",@progbits,_ZN9rocsparseL22bsrxmvn_general_kernelILj1024ELj32E21rocsparse_complex_numIfEiiS2_S2_S2_EEv20rocsparse_direction_NS_24const_host_device_scalarIT1_EET3_PKS7_PKT2_SC_S9_PKT4_S7_PKT5_S6_PT6_21rocsparse_index_base_b,comdat
	.globl	_ZN9rocsparseL22bsrxmvn_general_kernelILj1024ELj32E21rocsparse_complex_numIfEiiS2_S2_S2_EEv20rocsparse_direction_NS_24const_host_device_scalarIT1_EET3_PKS7_PKT2_SC_S9_PKT4_S7_PKT5_S6_PT6_21rocsparse_index_base_b ; -- Begin function _ZN9rocsparseL22bsrxmvn_general_kernelILj1024ELj32E21rocsparse_complex_numIfEiiS2_S2_S2_EEv20rocsparse_direction_NS_24const_host_device_scalarIT1_EET3_PKS7_PKT2_SC_S9_PKT4_S7_PKT5_S6_PT6_21rocsparse_index_base_b
	.p2align	8
	.type	_ZN9rocsparseL22bsrxmvn_general_kernelILj1024ELj32E21rocsparse_complex_numIfEiiS2_S2_S2_EEv20rocsparse_direction_NS_24const_host_device_scalarIT1_EET3_PKS7_PKT2_SC_S9_PKT4_S7_PKT5_S6_PT6_21rocsparse_index_base_b,@function
_ZN9rocsparseL22bsrxmvn_general_kernelILj1024ELj32E21rocsparse_complex_numIfEiiS2_S2_S2_EEv20rocsparse_direction_NS_24const_host_device_scalarIT1_EET3_PKS7_PKT2_SC_S9_PKT4_S7_PKT5_S6_PT6_21rocsparse_index_base_b: ; @_ZN9rocsparseL22bsrxmvn_general_kernelILj1024ELj32E21rocsparse_complex_numIfEiiS2_S2_S2_EEv20rocsparse_direction_NS_24const_host_device_scalarIT1_EET3_PKS7_PKT2_SC_S9_PKT4_S7_PKT5_S6_PT6_21rocsparse_index_base_b
; %bb.0:
	s_clause 0x2
	s_load_b64 s[12:13], s[0:1], 0x60
	s_load_b64 s[2:3], s[0:1], 0x8
	;; [unrolled: 1-line block ×3, first 2 shown]
	s_add_nc_u64 s[6:7], s[0:1], 8
	s_wait_kmcnt 0x0
	s_bitcmp1_b32 s13, 0
	s_cselect_b32 s2, s6, s2
	s_cselect_b32 s3, s7, s3
	s_delay_alu instid0(SALU_CYCLE_1)
	v_dual_mov_b32 v1, s2 :: v_dual_mov_b32 v2, s3
	s_add_nc_u64 s[2:3], s[0:1], 0x50
	s_wait_alu 0xfffe
	s_cselect_b32 s2, s2, s4
	s_cselect_b32 s3, s3, s5
	flat_load_b64 v[1:2], v[1:2]
	s_wait_alu 0xfffe
	v_dual_mov_b32 v3, s2 :: v_dual_mov_b32 v4, s3
	flat_load_b64 v[3:4], v[3:4]
	s_wait_loadcnt_dscnt 0x101
	v_cmp_eq_f32_e32 vcc_lo, 0, v1
	v_cmp_eq_f32_e64 s2, 0, v2
	s_and_b32 s4, vcc_lo, s2
	s_mov_b32 s2, -1
	s_and_saveexec_b32 s3, s4
	s_cbranch_execz .LBB8_2
; %bb.1:
	s_wait_loadcnt_dscnt 0x0
	v_cmp_neq_f32_e32 vcc_lo, 1.0, v3
	v_cmp_neq_f32_e64 s2, 0, v4
	s_wait_alu 0xfffe
	s_or_b32 s2, vcc_lo, s2
	s_wait_alu 0xfffe
	s_or_not1_b32 s2, s2, exec_lo
.LBB8_2:
	s_wait_alu 0xfffe
	s_or_b32 exec_lo, exec_lo, s3
	s_and_saveexec_b32 s3, s2
	s_cbranch_execz .LBB8_25
; %bb.3:
	s_load_b64 s[2:3], s[0:1], 0x18
	s_wait_kmcnt 0x0
	s_cmp_eq_u64 s[2:3], 0
	s_cbranch_scc1 .LBB8_5
; %bb.4:
	s_mov_b32 s4, ttmp9
	s_ashr_i32 s5, ttmp9, 31
	s_delay_alu instid0(SALU_CYCLE_1) | instskip(NEXT) | instid1(SALU_CYCLE_1)
	s_lshl_b64 s[4:5], s[4:5], 2
	s_add_nc_u64 s[2:3], s[2:3], s[4:5]
	s_load_b32 s2, s[2:3], 0x0
	s_wait_kmcnt 0x0
	s_sub_co_i32 s18, s2, s12
	s_branch .LBB8_6
.LBB8_5:
	s_mov_b32 s18, ttmp9
.LBB8_6:
	s_load_b32 s14, s[0:1], 0x40
	v_lshrrev_b32_e32 v5, 5, v0
	s_wait_kmcnt 0x0
	s_delay_alu instid0(VALU_DEP_1)
	v_cmp_gt_i32_e32 vcc_lo, s14, v5
	s_and_b32 exec_lo, exec_lo, vcc_lo
	s_cbranch_execz .LBB8_25
; %bb.7:
	s_load_b256 s[4:11], s[0:1], 0x20
	s_ashr_i32 s19, s18, 31
	v_mbcnt_lo_u32_b32 v9, -1, 0
	s_lshl_b64 s[20:21], s[18:19], 2
	s_load_b32 s27, s[0:1], 0x0
	v_dual_mov_b32 v6, 0 :: v_dual_and_b32 v7, 31, v0
	s_delay_alu instid0(VALU_DEP_2)
	v_xor_b32_e32 v10, 16, v9
	v_xor_b32_e32 v11, 8, v9
	;; [unrolled: 1-line block ×5, first 2 shown]
	v_cmp_gt_i32_e64 s3, 32, v10
	v_mul_lo_u32 v0, s14, v5
	v_mul_lo_u32 v15, s14, v7
	s_wait_loadcnt_dscnt 0x0
	v_cmp_eq_f32_e32 vcc_lo, 0, v3
	v_cmp_eq_f32_e64 s2, 0, v4
	s_wait_alu 0xf1ff
	v_cndmask_b32_e64 v10, v9, v10, s3
	v_cmp_gt_i32_e64 s3, 32, v11
	s_mov_b32 s15, 0
	s_wait_kmcnt 0x0
	s_add_nc_u64 s[22:23], s[4:5], s[20:21]
	s_add_nc_u64 s[24:25], s[6:7], s[20:21]
	s_load_b32 s26, s[22:23], 0x0
	s_clause 0x1
	s_load_b64 s[4:5], s[0:1], 0x58
	s_load_b64 s[16:17], s[0:1], 0x48
	s_add_nc_u64 s[22:23], s[22:23], 4
	v_cndmask_b32_e64 v11, v9, v11, s3
	v_cmp_gt_i32_e64 s3, 32, v12
	v_cmp_gt_u32_e64 s0, s14, v7
	v_cmp_eq_u32_e64 s1, 31, v7
	s_delay_alu instid0(VALU_DEP_4)
	v_dual_mov_b32 v8, v6 :: v_dual_lshlrev_b32 v17, 2, v11
	s_wait_alu 0xf1ff
	v_cndmask_b32_e64 v12, v9, v12, s3
	v_cmp_gt_i32_e64 s3, 32, v13
	v_lshlrev_b32_e32 v16, 2, v10
	s_mul_i32 s13, s18, s14
	s_mul_u64 s[18:19], s[14:15], s[14:15]
	v_lshlrev_b32_e32 v18, 2, v12
	v_cndmask_b32_e64 v13, v9, v13, s3
	v_cmp_gt_i32_e64 s3, 32, v14
	s_wait_kmcnt 0x0
	s_sub_co_i32 s20, s26, s12
	s_cmp_eq_u64 s[6:7], 0
	s_wait_alu 0xf1ff
	v_cndmask_b32_e64 v9, v9, v14, s3
	s_cselect_b32 s7, s23, s25
	s_cselect_b32 s6, s22, s24
	v_lshlrev_b32_e32 v19, 2, v13
	s_load_b32 s6, s[6:7], 0x0
	v_lshlrev_b32_e32 v20, 2, v9
	s_wait_kmcnt 0x0
	s_sub_co_i32 s22, s6, s12
	s_cmp_lt_i32 s26, s6
	s_cselect_b32 s23, -1, 0
	s_cmp_lg_u32 s27, 0
	s_cselect_b32 s24, -1, 0
	s_ashr_i32 s21, s20, 31
	s_and_b32 s25, vcc_lo, s2
	s_mul_u64 s[2:3], s[20:21], s[18:19]
	s_lshl_b32 s21, s14, 5
	s_branch .LBB8_9
.LBB8_8:                                ;   in Loop: Header=BB8_9 Depth=1
	s_wait_alu 0xfffe
	s_or_b32 exec_lo, exec_lo, s6
	v_add_nc_u32_e32 v5, 32, v5
	v_add_nc_u32_e32 v0, s21, v0
	s_delay_alu instid0(VALU_DEP_2)
	v_cmp_le_i32_e32 vcc_lo, s14, v5
	s_or_b32 s15, vcc_lo, s15
	s_wait_alu 0xfffe
	s_and_not1_b32 exec_lo, exec_lo, s15
	s_cbranch_execz .LBB8_25
.LBB8_9:                                ; =>This Loop Header: Depth=1
                                        ;     Child Loop BB8_13 Depth 2
                                        ;       Child Loop BB8_16 Depth 3
	v_dual_mov_b32 v21, 0 :: v_dual_mov_b32 v22, 0
	s_and_not1_b32 vcc_lo, exec_lo, s23
	s_wait_alu 0xfffe
	s_cbranch_vccnz .LBB8_20
; %bb.10:                               ;   in Loop: Header=BB8_9 Depth=1
	v_ashrrev_i32_e32 v9, 31, v0
	v_add_co_u32 v23, vcc_lo, s2, v0
	v_dual_mov_b32 v21, 0 :: v_dual_mov_b32 v22, 0
	s_wait_alu 0xfffd
	s_delay_alu instid0(VALU_DEP_3)
	v_add_co_ci_u32_e64 v24, null, s3, v9, vcc_lo
	s_mov_b32 s6, s20
	s_branch .LBB8_13
.LBB8_11:                               ;   in Loop: Header=BB8_13 Depth=2
	s_or_b32 exec_lo, exec_lo, s7
.LBB8_12:                               ;   in Loop: Header=BB8_13 Depth=2
	s_wait_alu 0xfffe
	s_or_b32 exec_lo, exec_lo, s26
	v_add_co_u32 v23, vcc_lo, v23, s18
	s_wait_alu 0xfffd
	v_add_co_ci_u32_e64 v24, null, s19, v24, vcc_lo
	s_add_co_i32 s6, s6, 1
	s_wait_alu 0xfffe
	s_cmp_ge_i32 s6, s22
	s_cbranch_scc1 .LBB8_20
.LBB8_13:                               ;   Parent Loop BB8_9 Depth=1
                                        ; =>  This Loop Header: Depth=2
                                        ;       Child Loop BB8_16 Depth 3
	s_and_saveexec_b32 s26, s0
	s_cbranch_execz .LBB8_12
; %bb.14:                               ;   in Loop: Header=BB8_13 Depth=2
	s_wait_alu 0xfffe
	s_ashr_i32 s7, s6, 31
	s_wait_dscnt 0x1
	v_mad_co_u64_u32 v[9:10], null, s18, s6, v[5:6]
	s_wait_alu 0xfffe
	s_lshl_b64 s[28:29], s[6:7], 2
	s_mul_i32 s7, s18, s7
	s_wait_alu 0xfffe
	s_add_nc_u64 s[28:29], s[8:9], s[28:29]
	s_wait_dscnt 0x0
	v_dual_mov_b32 v25, v15 :: v_dual_mov_b32 v12, v8
	s_load_b32 s27, s[28:29], 0x0
	s_mul_i32 s28, s19, s6
	v_mov_b32_e32 v11, v7
	s_wait_alu 0xfffe
	v_add3_u32 v10, s7, s28, v10
	s_wait_kmcnt 0x0
	s_sub_co_i32 s7, s27, s12
	s_wait_alu 0xfffe
	s_mul_i32 s27, s7, s14
	s_mov_b32 s7, 0
	s_branch .LBB8_16
.LBB8_15:                               ;   in Loop: Header=BB8_16 Depth=3
	v_add_nc_u32_e32 v26, s27, v11
	s_delay_alu instid0(VALU_DEP_2) | instskip(SKIP_1) | instid1(VALU_DEP_3)
	v_lshlrev_b64_e32 v[13:14], 3, v[13:14]
	v_add_nc_u32_e32 v25, s21, v25
	v_ashrrev_i32_e32 v27, 31, v26
	s_delay_alu instid0(VALU_DEP_3) | instskip(SKIP_1) | instid1(VALU_DEP_4)
	v_add_co_u32 v13, vcc_lo, s10, v13
	s_wait_alu 0xfffd
	v_add_co_ci_u32_e64 v14, null, s11, v14, vcc_lo
	s_delay_alu instid0(VALU_DEP_3) | instskip(NEXT) | instid1(VALU_DEP_1)
	v_lshlrev_b64_e32 v[26:27], 3, v[26:27]
	v_add_co_u32 v26, vcc_lo, s16, v26
	s_wait_alu 0xfffd
	s_delay_alu instid0(VALU_DEP_2)
	v_add_co_ci_u32_e64 v27, null, s17, v27, vcc_lo
	global_load_b64 v[13:14], v[13:14], off
	global_load_b64 v[26:27], v[26:27], off
	v_add_co_u32 v11, vcc_lo, v11, 32
	s_wait_alu 0xfffd
	v_add_co_ci_u32_e64 v12, null, 0, v12, vcc_lo
	s_delay_alu instid0(VALU_DEP_2) | instskip(SKIP_4) | instid1(VALU_DEP_2)
	v_cmp_le_i32_e32 vcc_lo, s14, v11
	s_or_b32 s7, vcc_lo, s7
	s_wait_loadcnt 0x0
	v_fmac_f32_e32 v22, v13, v26
	v_fmac_f32_e32 v21, v14, v26
	v_fma_f32 v22, -v14, v27, v22
	s_delay_alu instid0(VALU_DEP_2)
	v_fmac_f32_e32 v21, v13, v27
	s_wait_alu 0xfffe
	s_and_not1_b32 exec_lo, exec_lo, s7
	s_cbranch_execz .LBB8_11
.LBB8_16:                               ;   Parent Loop BB8_9 Depth=1
                                        ;     Parent Loop BB8_13 Depth=2
                                        ; =>    This Inner Loop Header: Depth=3
	s_and_b32 vcc_lo, exec_lo, s24
	s_wait_alu 0xfffe
	s_cbranch_vccz .LBB8_18
; %bb.17:                               ;   in Loop: Header=BB8_16 Depth=3
	v_ashrrev_i32_e32 v14, 31, v25
	v_add_co_u32 v13, vcc_lo, v9, v25
	s_wait_alu 0xfffd
	s_delay_alu instid0(VALU_DEP_2)
	v_add_co_ci_u32_e64 v14, null, v10, v14, vcc_lo
	s_cbranch_execnz .LBB8_15
	s_branch .LBB8_19
.LBB8_18:                               ;   in Loop: Header=BB8_16 Depth=3
                                        ; implicit-def: $vgpr13_vgpr14
.LBB8_19:                               ;   in Loop: Header=BB8_16 Depth=3
	v_add_co_u32 v13, vcc_lo, v23, v11
	s_wait_alu 0xfffd
	v_add_co_ci_u32_e64 v14, null, v24, v12, vcc_lo
	s_branch .LBB8_15
.LBB8_20:                               ;   in Loop: Header=BB8_9 Depth=1
	ds_bpermute_b32 v9, v16, v22
	s_wait_dscnt 0x2
	ds_bpermute_b32 v10, v16, v21
	s_wait_dscnt 0x0
	v_dual_add_f32 v9, v22, v9 :: v_dual_add_f32 v10, v21, v10
	ds_bpermute_b32 v11, v17, v9
	ds_bpermute_b32 v12, v17, v10
	s_wait_dscnt 0x0
	v_dual_add_f32 v9, v9, v11 :: v_dual_add_f32 v10, v10, v12
	ds_bpermute_b32 v11, v18, v9
	;; [unrolled: 4-line block ×3, first 2 shown]
	ds_bpermute_b32 v12, v19, v10
	s_wait_dscnt 0x1
	v_add_f32_e32 v9, v9, v11
	s_wait_dscnt 0x0
	v_add_f32_e32 v11, v10, v12
	ds_bpermute_b32 v10, v20, v9
	ds_bpermute_b32 v12, v20, v11
	s_and_saveexec_b32 s6, s1
	s_cbranch_execz .LBB8_8
; %bb.21:                               ;   in Loop: Header=BB8_9 Depth=1
	s_wait_dscnt 0x0
	v_dual_add_f32 v11, v11, v12 :: v_dual_add_f32 v12, v9, v10
	s_delay_alu instid0(VALU_DEP_1) | instskip(SKIP_1) | instid1(VALU_DEP_2)
	v_mul_f32_e64 v9, v11, -v2
	v_dual_mul_f32 v10, v1, v11 :: v_dual_add_nc_u32 v11, s13, v5
	v_fmac_f32_e32 v9, v1, v12
	s_delay_alu instid0(VALU_DEP_2) | instskip(NEXT) | instid1(VALU_DEP_3)
	v_fmac_f32_e32 v10, v2, v12
	v_ashrrev_i32_e32 v12, 31, v11
	s_and_saveexec_b32 s7, s25
	s_wait_alu 0xfffe
	s_xor_b32 s7, exec_lo, s7
	s_cbranch_execz .LBB8_23
; %bb.22:                               ;   in Loop: Header=BB8_9 Depth=1
	v_lshlrev_b64_e32 v[11:12], 3, v[11:12]
	s_delay_alu instid0(VALU_DEP_1) | instskip(SKIP_1) | instid1(VALU_DEP_2)
	v_add_co_u32 v11, vcc_lo, s4, v11
	s_wait_alu 0xfffd
	v_add_co_ci_u32_e64 v12, null, s5, v12, vcc_lo
	global_store_b64 v[11:12], v[9:10], off
                                        ; implicit-def: $vgpr11
                                        ; implicit-def: $vgpr9
.LBB8_23:                               ;   in Loop: Header=BB8_9 Depth=1
	s_wait_alu 0xfffe
	s_and_not1_saveexec_b32 s7, s7
	s_cbranch_execz .LBB8_8
; %bb.24:                               ;   in Loop: Header=BB8_9 Depth=1
	v_lshlrev_b64_e32 v[11:12], 3, v[11:12]
	s_delay_alu instid0(VALU_DEP_1) | instskip(SKIP_1) | instid1(VALU_DEP_2)
	v_add_co_u32 v11, vcc_lo, s4, v11
	s_wait_alu 0xfffd
	v_add_co_ci_u32_e64 v12, null, s5, v12, vcc_lo
	global_load_b64 v[13:14], v[11:12], off
	s_wait_loadcnt 0x0
	v_fmac_f32_e32 v9, v3, v13
	v_fmac_f32_e32 v10, v4, v13
	s_delay_alu instid0(VALU_DEP_2) | instskip(NEXT) | instid1(VALU_DEP_2)
	v_fma_f32 v9, -v4, v14, v9
	v_fmac_f32_e32 v10, v3, v14
	global_store_b64 v[11:12], v[9:10], off
	s_branch .LBB8_8
.LBB8_25:
	s_endpgm
	.section	.rodata,"a",@progbits
	.p2align	6, 0x0
	.amdhsa_kernel _ZN9rocsparseL22bsrxmvn_general_kernelILj1024ELj32E21rocsparse_complex_numIfEiiS2_S2_S2_EEv20rocsparse_direction_NS_24const_host_device_scalarIT1_EET3_PKS7_PKT2_SC_S9_PKT4_S7_PKT5_S6_PT6_21rocsparse_index_base_b
		.amdhsa_group_segment_fixed_size 0
		.amdhsa_private_segment_fixed_size 0
		.amdhsa_kernarg_size 104
		.amdhsa_user_sgpr_count 2
		.amdhsa_user_sgpr_dispatch_ptr 0
		.amdhsa_user_sgpr_queue_ptr 0
		.amdhsa_user_sgpr_kernarg_segment_ptr 1
		.amdhsa_user_sgpr_dispatch_id 0
		.amdhsa_user_sgpr_private_segment_size 0
		.amdhsa_wavefront_size32 1
		.amdhsa_uses_dynamic_stack 0
		.amdhsa_enable_private_segment 0
		.amdhsa_system_sgpr_workgroup_id_x 1
		.amdhsa_system_sgpr_workgroup_id_y 0
		.amdhsa_system_sgpr_workgroup_id_z 0
		.amdhsa_system_sgpr_workgroup_info 0
		.amdhsa_system_vgpr_workitem_id 0
		.amdhsa_next_free_vgpr 28
		.amdhsa_next_free_sgpr 30
		.amdhsa_reserve_vcc 1
		.amdhsa_float_round_mode_32 0
		.amdhsa_float_round_mode_16_64 0
		.amdhsa_float_denorm_mode_32 3
		.amdhsa_float_denorm_mode_16_64 3
		.amdhsa_fp16_overflow 0
		.amdhsa_workgroup_processor_mode 1
		.amdhsa_memory_ordered 1
		.amdhsa_forward_progress 1
		.amdhsa_inst_pref_size 12
		.amdhsa_round_robin_scheduling 0
		.amdhsa_exception_fp_ieee_invalid_op 0
		.amdhsa_exception_fp_denorm_src 0
		.amdhsa_exception_fp_ieee_div_zero 0
		.amdhsa_exception_fp_ieee_overflow 0
		.amdhsa_exception_fp_ieee_underflow 0
		.amdhsa_exception_fp_ieee_inexact 0
		.amdhsa_exception_int_div_zero 0
	.end_amdhsa_kernel
	.section	.text._ZN9rocsparseL22bsrxmvn_general_kernelILj1024ELj32E21rocsparse_complex_numIfEiiS2_S2_S2_EEv20rocsparse_direction_NS_24const_host_device_scalarIT1_EET3_PKS7_PKT2_SC_S9_PKT4_S7_PKT5_S6_PT6_21rocsparse_index_base_b,"axG",@progbits,_ZN9rocsparseL22bsrxmvn_general_kernelILj1024ELj32E21rocsparse_complex_numIfEiiS2_S2_S2_EEv20rocsparse_direction_NS_24const_host_device_scalarIT1_EET3_PKS7_PKT2_SC_S9_PKT4_S7_PKT5_S6_PT6_21rocsparse_index_base_b,comdat
.Lfunc_end8:
	.size	_ZN9rocsparseL22bsrxmvn_general_kernelILj1024ELj32E21rocsparse_complex_numIfEiiS2_S2_S2_EEv20rocsparse_direction_NS_24const_host_device_scalarIT1_EET3_PKS7_PKT2_SC_S9_PKT4_S7_PKT5_S6_PT6_21rocsparse_index_base_b, .Lfunc_end8-_ZN9rocsparseL22bsrxmvn_general_kernelILj1024ELj32E21rocsparse_complex_numIfEiiS2_S2_S2_EEv20rocsparse_direction_NS_24const_host_device_scalarIT1_EET3_PKS7_PKT2_SC_S9_PKT4_S7_PKT5_S6_PT6_21rocsparse_index_base_b
                                        ; -- End function
	.set _ZN9rocsparseL22bsrxmvn_general_kernelILj1024ELj32E21rocsparse_complex_numIfEiiS2_S2_S2_EEv20rocsparse_direction_NS_24const_host_device_scalarIT1_EET3_PKS7_PKT2_SC_S9_PKT4_S7_PKT5_S6_PT6_21rocsparse_index_base_b.num_vgpr, 28
	.set _ZN9rocsparseL22bsrxmvn_general_kernelILj1024ELj32E21rocsparse_complex_numIfEiiS2_S2_S2_EEv20rocsparse_direction_NS_24const_host_device_scalarIT1_EET3_PKS7_PKT2_SC_S9_PKT4_S7_PKT5_S6_PT6_21rocsparse_index_base_b.num_agpr, 0
	.set _ZN9rocsparseL22bsrxmvn_general_kernelILj1024ELj32E21rocsparse_complex_numIfEiiS2_S2_S2_EEv20rocsparse_direction_NS_24const_host_device_scalarIT1_EET3_PKS7_PKT2_SC_S9_PKT4_S7_PKT5_S6_PT6_21rocsparse_index_base_b.numbered_sgpr, 30
	.set _ZN9rocsparseL22bsrxmvn_general_kernelILj1024ELj32E21rocsparse_complex_numIfEiiS2_S2_S2_EEv20rocsparse_direction_NS_24const_host_device_scalarIT1_EET3_PKS7_PKT2_SC_S9_PKT4_S7_PKT5_S6_PT6_21rocsparse_index_base_b.num_named_barrier, 0
	.set _ZN9rocsparseL22bsrxmvn_general_kernelILj1024ELj32E21rocsparse_complex_numIfEiiS2_S2_S2_EEv20rocsparse_direction_NS_24const_host_device_scalarIT1_EET3_PKS7_PKT2_SC_S9_PKT4_S7_PKT5_S6_PT6_21rocsparse_index_base_b.private_seg_size, 0
	.set _ZN9rocsparseL22bsrxmvn_general_kernelILj1024ELj32E21rocsparse_complex_numIfEiiS2_S2_S2_EEv20rocsparse_direction_NS_24const_host_device_scalarIT1_EET3_PKS7_PKT2_SC_S9_PKT4_S7_PKT5_S6_PT6_21rocsparse_index_base_b.uses_vcc, 1
	.set _ZN9rocsparseL22bsrxmvn_general_kernelILj1024ELj32E21rocsparse_complex_numIfEiiS2_S2_S2_EEv20rocsparse_direction_NS_24const_host_device_scalarIT1_EET3_PKS7_PKT2_SC_S9_PKT4_S7_PKT5_S6_PT6_21rocsparse_index_base_b.uses_flat_scratch, 0
	.set _ZN9rocsparseL22bsrxmvn_general_kernelILj1024ELj32E21rocsparse_complex_numIfEiiS2_S2_S2_EEv20rocsparse_direction_NS_24const_host_device_scalarIT1_EET3_PKS7_PKT2_SC_S9_PKT4_S7_PKT5_S6_PT6_21rocsparse_index_base_b.has_dyn_sized_stack, 0
	.set _ZN9rocsparseL22bsrxmvn_general_kernelILj1024ELj32E21rocsparse_complex_numIfEiiS2_S2_S2_EEv20rocsparse_direction_NS_24const_host_device_scalarIT1_EET3_PKS7_PKT2_SC_S9_PKT4_S7_PKT5_S6_PT6_21rocsparse_index_base_b.has_recursion, 0
	.set _ZN9rocsparseL22bsrxmvn_general_kernelILj1024ELj32E21rocsparse_complex_numIfEiiS2_S2_S2_EEv20rocsparse_direction_NS_24const_host_device_scalarIT1_EET3_PKS7_PKT2_SC_S9_PKT4_S7_PKT5_S6_PT6_21rocsparse_index_base_b.has_indirect_call, 0
	.section	.AMDGPU.csdata,"",@progbits
; Kernel info:
; codeLenInByte = 1508
; TotalNumSgprs: 32
; NumVgprs: 28
; ScratchSize: 0
; MemoryBound: 0
; FloatMode: 240
; IeeeMode: 1
; LDSByteSize: 0 bytes/workgroup (compile time only)
; SGPRBlocks: 0
; VGPRBlocks: 3
; NumSGPRsForWavesPerEU: 32
; NumVGPRsForWavesPerEU: 28
; Occupancy: 16
; WaveLimiterHint : 1
; COMPUTE_PGM_RSRC2:SCRATCH_EN: 0
; COMPUTE_PGM_RSRC2:USER_SGPR: 2
; COMPUTE_PGM_RSRC2:TRAP_HANDLER: 0
; COMPUTE_PGM_RSRC2:TGID_X_EN: 1
; COMPUTE_PGM_RSRC2:TGID_Y_EN: 0
; COMPUTE_PGM_RSRC2:TGID_Z_EN: 0
; COMPUTE_PGM_RSRC2:TIDIG_COMP_CNT: 0
	.section	.text._ZN9rocsparseL22bsrxmvn_general_kernelILj64ELj8E21rocsparse_complex_numIdEiiS2_S2_S2_EEv20rocsparse_direction_NS_24const_host_device_scalarIT1_EET3_PKS7_PKT2_SC_S9_PKT4_S7_PKT5_S6_PT6_21rocsparse_index_base_b,"axG",@progbits,_ZN9rocsparseL22bsrxmvn_general_kernelILj64ELj8E21rocsparse_complex_numIdEiiS2_S2_S2_EEv20rocsparse_direction_NS_24const_host_device_scalarIT1_EET3_PKS7_PKT2_SC_S9_PKT4_S7_PKT5_S6_PT6_21rocsparse_index_base_b,comdat
	.globl	_ZN9rocsparseL22bsrxmvn_general_kernelILj64ELj8E21rocsparse_complex_numIdEiiS2_S2_S2_EEv20rocsparse_direction_NS_24const_host_device_scalarIT1_EET3_PKS7_PKT2_SC_S9_PKT4_S7_PKT5_S6_PT6_21rocsparse_index_base_b ; -- Begin function _ZN9rocsparseL22bsrxmvn_general_kernelILj64ELj8E21rocsparse_complex_numIdEiiS2_S2_S2_EEv20rocsparse_direction_NS_24const_host_device_scalarIT1_EET3_PKS7_PKT2_SC_S9_PKT4_S7_PKT5_S6_PT6_21rocsparse_index_base_b
	.p2align	8
	.type	_ZN9rocsparseL22bsrxmvn_general_kernelILj64ELj8E21rocsparse_complex_numIdEiiS2_S2_S2_EEv20rocsparse_direction_NS_24const_host_device_scalarIT1_EET3_PKS7_PKT2_SC_S9_PKT4_S7_PKT5_S6_PT6_21rocsparse_index_base_b,@function
_ZN9rocsparseL22bsrxmvn_general_kernelILj64ELj8E21rocsparse_complex_numIdEiiS2_S2_S2_EEv20rocsparse_direction_NS_24const_host_device_scalarIT1_EET3_PKS7_PKT2_SC_S9_PKT4_S7_PKT5_S6_PT6_21rocsparse_index_base_b: ; @_ZN9rocsparseL22bsrxmvn_general_kernelILj64ELj8E21rocsparse_complex_numIdEiiS2_S2_S2_EEv20rocsparse_direction_NS_24const_host_device_scalarIT1_EET3_PKS7_PKT2_SC_S9_PKT4_S7_PKT5_S6_PT6_21rocsparse_index_base_b
; %bb.0:
	s_clause 0x1
	s_load_b64 s[12:13], s[0:1], 0x70
	s_load_b64 s[2:3], s[0:1], 0x8
	s_add_nc_u64 s[4:5], s[0:1], 8
	s_load_b64 s[6:7], s[0:1], 0x58
	s_wait_kmcnt 0x0
	s_bitcmp1_b32 s13, 0
	s_cselect_b32 s2, s4, s2
	s_cselect_b32 s3, s5, s3
	s_delay_alu instid0(SALU_CYCLE_1)
	v_dual_mov_b32 v1, s2 :: v_dual_mov_b32 v2, s3
	s_add_nc_u64 s[2:3], s[0:1], 0x58
	s_wait_alu 0xfffe
	s_cselect_b32 s2, s2, s6
	s_cselect_b32 s3, s3, s7
	flat_load_b128 v[1:4], v[1:2]
	s_wait_alu 0xfffe
	v_dual_mov_b32 v5, s2 :: v_dual_mov_b32 v6, s3
	flat_load_b128 v[5:8], v[5:6]
	s_wait_loadcnt_dscnt 0x101
	v_cmp_eq_f64_e32 vcc_lo, 0, v[1:2]
	v_cmp_eq_f64_e64 s2, 0, v[3:4]
	s_and_b32 s4, vcc_lo, s2
	s_mov_b32 s2, -1
	s_and_saveexec_b32 s3, s4
	s_cbranch_execz .LBB9_2
; %bb.1:
	s_wait_loadcnt_dscnt 0x0
	v_cmp_neq_f64_e32 vcc_lo, 1.0, v[5:6]
	v_cmp_neq_f64_e64 s2, 0, v[7:8]
	s_wait_alu 0xfffe
	s_or_b32 s2, vcc_lo, s2
	s_wait_alu 0xfffe
	s_or_not1_b32 s2, s2, exec_lo
.LBB9_2:
	s_wait_alu 0xfffe
	s_or_b32 exec_lo, exec_lo, s3
	s_and_saveexec_b32 s3, s2
	s_cbranch_execz .LBB9_25
; %bb.3:
	s_load_b64 s[2:3], s[0:1], 0x20
	s_wait_kmcnt 0x0
	s_cmp_eq_u64 s[2:3], 0
	s_cbranch_scc1 .LBB9_5
; %bb.4:
	s_mov_b32 s4, ttmp9
	s_ashr_i32 s5, ttmp9, 31
	s_delay_alu instid0(SALU_CYCLE_1) | instskip(NEXT) | instid1(SALU_CYCLE_1)
	s_lshl_b64 s[4:5], s[4:5], 2
	s_add_nc_u64 s[2:3], s[2:3], s[4:5]
	s_load_b32 s2, s[2:3], 0x0
	s_wait_kmcnt 0x0
	s_sub_co_i32 s20, s2, s12
	s_branch .LBB9_6
.LBB9_5:
	s_mov_b32 s20, ttmp9
.LBB9_6:
	s_load_b32 s14, s[0:1], 0x48
	v_lshrrev_b32_e32 v13, 3, v0
	s_wait_kmcnt 0x0
	s_delay_alu instid0(VALU_DEP_1)
	v_cmp_gt_i32_e32 vcc_lo, s14, v13
	s_and_b32 exec_lo, exec_lo, vcc_lo
	s_cbranch_execz .LBB9_25
; %bb.7:
	s_load_b256 s[4:11], s[0:1], 0x28
	s_ashr_i32 s21, s20, 31
	s_wait_loadcnt_dscnt 0x0
	v_cmp_eq_f64_e32 vcc_lo, 0, v[5:6]
	s_lshl_b64 s[18:19], s[20:21], 2
	v_cmp_eq_f64_e64 s2, 0, v[7:8]
	v_mbcnt_lo_u32_b32 v9, -1, 0
	s_load_b32 s24, s[0:1], 0x0
	v_dual_mov_b32 v14, 0 :: v_dual_and_b32 v15, 7, v0
	v_mul_lo_u32 v0, s14, v13
	s_delay_alu instid0(VALU_DEP_3)
	v_xor_b32_e32 v10, 4, v9
	v_xor_b32_e32 v11, 2, v9
	;; [unrolled: 1-line block ×3, first 2 shown]
	v_mul_lo_u32 v23, s14, v15
	s_mov_b32 s15, 0
	v_cmp_gt_i32_e64 s3, 32, v10
	s_mul_i32 s13, s20, s14
	v_cndmask_b32_e64 v10, v9, v10, s3
	s_wait_kmcnt 0x0
	s_add_nc_u64 s[22:23], s[4:5], s[18:19]
	s_load_b32 s21, s[22:23], 0x0
	s_clause 0x1
	s_load_b64 s[4:5], s[0:1], 0x68
	s_load_b64 s[16:17], s[0:1], 0x50
	s_add_nc_u64 s[0:1], s[6:7], s[18:19]
	s_add_nc_u64 s[22:23], s[22:23], 4
	v_cmp_gt_i32_e64 s3, 32, v11
	v_lshlrev_b32_e32 v24, 2, v10
	s_wait_alu 0xf1ff
	s_delay_alu instid0(VALU_DEP_2) | instskip(SKIP_1) | instid1(VALU_DEP_2)
	v_cndmask_b32_e64 v11, v9, v11, s3
	v_cmp_gt_i32_e64 s3, 32, v12
	v_dual_mov_b32 v16, v14 :: v_dual_lshlrev_b32 v25, 2, v11
	s_wait_alu 0xf1ff
	s_delay_alu instid0(VALU_DEP_2) | instskip(SKIP_3) | instid1(VALU_DEP_1)
	v_cndmask_b32_e64 v9, v9, v12, s3
	s_wait_kmcnt 0x0
	s_sub_co_i32 s18, s21, s12
	s_cmp_eq_u64 s[6:7], 0
	v_lshlrev_b32_e32 v26, 2, v9
	s_cselect_b32 s1, s23, s1
	s_cselect_b32 s0, s22, s0
	s_mul_u64 s[6:7], s[14:15], s[14:15]
	s_load_b32 s19, s[0:1], 0x0
	v_cmp_gt_u32_e64 s0, s14, v15
	v_cmp_eq_u32_e64 s1, 7, v15
	s_wait_kmcnt 0x0
	s_sub_co_i32 s22, s19, s12
	s_cmp_lt_i32 s21, s19
	s_cselect_b32 s23, -1, 0
	s_cmp_lg_u32 s24, 0
	s_cselect_b32 s24, -1, 0
	s_ashr_i32 s19, s18, 31
	s_and_b32 s25, vcc_lo, s2
	s_mul_u64 s[2:3], s[18:19], s[6:7]
	s_lshl_b32 s19, s14, 3
	s_branch .LBB9_9
.LBB9_8:                                ;   in Loop: Header=BB9_9 Depth=1
	s_wait_alu 0xfffe
	s_or_b32 exec_lo, exec_lo, s20
	v_add_nc_u32_e32 v13, 8, v13
	v_add_nc_u32_e32 v0, s19, v0
	s_delay_alu instid0(VALU_DEP_2)
	v_cmp_le_i32_e32 vcc_lo, s14, v13
	s_or_b32 s15, vcc_lo, s15
	s_wait_alu 0xfffe
	s_and_not1_b32 exec_lo, exec_lo, s15
	s_cbranch_execz .LBB9_25
.LBB9_9:                                ; =>This Loop Header: Depth=1
                                        ;     Child Loop BB9_13 Depth 2
                                        ;       Child Loop BB9_16 Depth 3
	v_mov_b32_e32 v9, 0
	v_dual_mov_b32 v10, 0 :: v_dual_mov_b32 v11, 0
	v_mov_b32_e32 v12, 0
	s_and_not1_b32 vcc_lo, exec_lo, s23
	s_wait_alu 0xfffe
	s_cbranch_vccnz .LBB9_20
; %bb.10:                               ;   in Loop: Header=BB9_9 Depth=1
	s_wait_dscnt 0x3
	v_ashrrev_i32_e32 v17, 31, v0
	v_mov_b32_e32 v9, 0
	v_add_co_u32 v27, vcc_lo, s2, v0
	v_dual_mov_b32 v10, 0 :: v_dual_mov_b32 v11, 0
	v_mov_b32_e32 v12, 0
	s_wait_alu 0xfffd
	v_add_co_ci_u32_e64 v28, null, s3, v17, vcc_lo
	s_mov_b32 s20, s18
	s_branch .LBB9_13
.LBB9_11:                               ;   in Loop: Header=BB9_13 Depth=2
	s_or_b32 exec_lo, exec_lo, s21
.LBB9_12:                               ;   in Loop: Header=BB9_13 Depth=2
	s_wait_alu 0xfffe
	s_or_b32 exec_lo, exec_lo, s26
	v_add_co_u32 v27, vcc_lo, v27, s6
	s_wait_alu 0xfffd
	v_add_co_ci_u32_e64 v28, null, s7, v28, vcc_lo
	s_add_co_i32 s20, s20, 1
	s_wait_alu 0xfffe
	s_cmp_ge_i32 s20, s22
	s_cbranch_scc1 .LBB9_20
.LBB9_13:                               ;   Parent Loop BB9_9 Depth=1
                                        ; =>  This Loop Header: Depth=2
                                        ;       Child Loop BB9_16 Depth 3
	s_and_saveexec_b32 s26, s0
	s_cbranch_execz .LBB9_12
; %bb.14:                               ;   in Loop: Header=BB9_13 Depth=2
	s_wait_alu 0xfffe
	s_ashr_i32 s21, s20, 31
	s_wait_dscnt 0x2
	v_mad_co_u64_u32 v[17:18], null, s6, s20, v[13:14]
	s_wait_alu 0xfffe
	s_lshl_b64 s[28:29], s[20:21], 2
	s_mul_i32 s21, s6, s21
	s_wait_alu 0xfffe
	s_add_nc_u64 s[28:29], s[8:9], s[28:29]
	s_wait_dscnt 0x0
	v_dual_mov_b32 v29, v23 :: v_dual_mov_b32 v20, v16
	s_load_b32 s27, s[28:29], 0x0
	s_mul_i32 s28, s7, s20
	v_mov_b32_e32 v19, v15
	s_wait_alu 0xfffe
	v_add3_u32 v18, s21, s28, v18
	s_wait_kmcnt 0x0
	s_sub_co_i32 s21, s27, s12
	s_wait_alu 0xfffe
	s_mul_i32 s27, s21, s14
	s_mov_b32 s21, 0
	s_branch .LBB9_16
.LBB9_15:                               ;   in Loop: Header=BB9_16 Depth=3
	v_add_nc_u32_e32 v30, s27, v19
	s_delay_alu instid0(VALU_DEP_2) | instskip(SKIP_1) | instid1(VALU_DEP_3)
	v_lshlrev_b64_e32 v[21:22], 4, v[21:22]
	v_add_nc_u32_e32 v29, s19, v29
	v_ashrrev_i32_e32 v31, 31, v30
	s_delay_alu instid0(VALU_DEP_3) | instskip(SKIP_1) | instid1(VALU_DEP_4)
	v_add_co_u32 v21, vcc_lo, s10, v21
	s_wait_alu 0xfffd
	v_add_co_ci_u32_e64 v22, null, s11, v22, vcc_lo
	s_delay_alu instid0(VALU_DEP_3) | instskip(NEXT) | instid1(VALU_DEP_1)
	v_lshlrev_b64_e32 v[30:31], 4, v[30:31]
	v_add_co_u32 v34, vcc_lo, s16, v30
	s_wait_alu 0xfffd
	s_delay_alu instid0(VALU_DEP_2)
	v_add_co_ci_u32_e64 v35, null, s17, v31, vcc_lo
	v_add_co_u32 v19, vcc_lo, v19, 8
	global_load_b128 v[30:33], v[21:22], off
	global_load_b128 v[34:37], v[34:35], off
	s_wait_alu 0xfffd
	v_add_co_ci_u32_e64 v20, null, 0, v20, vcc_lo
	v_cmp_le_i32_e32 vcc_lo, s14, v19
	s_or_b32 s21, vcc_lo, s21
	s_wait_loadcnt 0x0
	v_fma_f64 v[11:12], v[30:31], v[34:35], v[11:12]
	v_fma_f64 v[9:10], v[32:33], v[34:35], v[9:10]
	s_delay_alu instid0(VALU_DEP_2) | instskip(NEXT) | instid1(VALU_DEP_2)
	v_fma_f64 v[11:12], -v[32:33], v[36:37], v[11:12]
	v_fma_f64 v[9:10], v[30:31], v[36:37], v[9:10]
	s_wait_alu 0xfffe
	s_and_not1_b32 exec_lo, exec_lo, s21
	s_cbranch_execz .LBB9_11
.LBB9_16:                               ;   Parent Loop BB9_9 Depth=1
                                        ;     Parent Loop BB9_13 Depth=2
                                        ; =>    This Inner Loop Header: Depth=3
	s_and_b32 vcc_lo, exec_lo, s24
	s_wait_alu 0xfffe
	s_cbranch_vccz .LBB9_18
; %bb.17:                               ;   in Loop: Header=BB9_16 Depth=3
	v_ashrrev_i32_e32 v22, 31, v29
	v_add_co_u32 v21, vcc_lo, v17, v29
	s_wait_alu 0xfffd
	s_delay_alu instid0(VALU_DEP_2)
	v_add_co_ci_u32_e64 v22, null, v18, v22, vcc_lo
	s_cbranch_execnz .LBB9_15
	s_branch .LBB9_19
.LBB9_18:                               ;   in Loop: Header=BB9_16 Depth=3
                                        ; implicit-def: $vgpr21_vgpr22
.LBB9_19:                               ;   in Loop: Header=BB9_16 Depth=3
	v_add_co_u32 v21, vcc_lo, v27, v19
	s_wait_alu 0xfffd
	v_add_co_ci_u32_e64 v22, null, v28, v20, vcc_lo
	s_branch .LBB9_15
.LBB9_20:                               ;   in Loop: Header=BB9_9 Depth=1
	s_wait_dscnt 0x3
	ds_bpermute_b32 v17, v24, v11
	s_wait_dscnt 0x3
	ds_bpermute_b32 v18, v24, v12
	;; [unrolled: 2-line block ×4, first 2 shown]
	s_wait_dscnt 0x2
	v_add_f64_e32 v[11:12], v[11:12], v[17:18]
	s_wait_dscnt 0x0
	v_add_f64_e32 v[17:18], v[9:10], v[19:20]
	ds_bpermute_b32 v9, v25, v11
	ds_bpermute_b32 v10, v25, v12
	;; [unrolled: 1-line block ×4, first 2 shown]
	s_wait_dscnt 0x2
	v_add_f64_e32 v[9:10], v[11:12], v[9:10]
	s_wait_dscnt 0x0
	v_add_f64_e32 v[11:12], v[17:18], v[19:20]
	ds_bpermute_b32 v17, v26, v9
	ds_bpermute_b32 v18, v26, v10
	;; [unrolled: 1-line block ×4, first 2 shown]
	s_and_saveexec_b32 s20, s1
	s_cbranch_execz .LBB9_8
; %bb.21:                               ;   in Loop: Header=BB9_9 Depth=1
	s_wait_dscnt 0x0
	v_add_f64_e32 v[11:12], v[11:12], v[19:20]
	v_add_f64_e32 v[17:18], v[9:10], v[17:18]
	s_delay_alu instid0(VALU_DEP_2) | instskip(SKIP_1) | instid1(VALU_DEP_2)
	v_mul_f64_e64 v[9:10], v[11:12], -v[3:4]
	v_mul_f64_e32 v[11:12], v[1:2], v[11:12]
	v_fma_f64 v[9:10], v[1:2], v[17:18], v[9:10]
	s_delay_alu instid0(VALU_DEP_2) | instskip(SKIP_1) | instid1(VALU_DEP_1)
	v_fma_f64 v[11:12], v[3:4], v[17:18], v[11:12]
	v_add_nc_u32_e32 v17, s13, v13
	v_ashrrev_i32_e32 v18, 31, v17
	s_and_saveexec_b32 s21, s25
	s_wait_alu 0xfffe
	s_xor_b32 s21, exec_lo, s21
	s_cbranch_execz .LBB9_23
; %bb.22:                               ;   in Loop: Header=BB9_9 Depth=1
	v_lshlrev_b64_e32 v[17:18], 4, v[17:18]
	s_delay_alu instid0(VALU_DEP_1) | instskip(SKIP_1) | instid1(VALU_DEP_2)
	v_add_co_u32 v17, vcc_lo, s4, v17
	s_wait_alu 0xfffd
	v_add_co_ci_u32_e64 v18, null, s5, v18, vcc_lo
	global_store_b128 v[17:18], v[9:12], off
                                        ; implicit-def: $vgpr17
                                        ; implicit-def: $vgpr9_vgpr10
.LBB9_23:                               ;   in Loop: Header=BB9_9 Depth=1
	s_wait_alu 0xfffe
	s_and_not1_saveexec_b32 s21, s21
	s_cbranch_execz .LBB9_8
; %bb.24:                               ;   in Loop: Header=BB9_9 Depth=1
	v_lshlrev_b64_e32 v[17:18], 4, v[17:18]
	s_delay_alu instid0(VALU_DEP_1) | instskip(SKIP_1) | instid1(VALU_DEP_2)
	v_add_co_u32 v21, vcc_lo, s4, v17
	s_wait_alu 0xfffd
	v_add_co_ci_u32_e64 v22, null, s5, v18, vcc_lo
	global_load_b128 v[17:20], v[21:22], off
	s_wait_loadcnt 0x0
	v_fma_f64 v[9:10], v[5:6], v[17:18], v[9:10]
	v_fma_f64 v[11:12], v[7:8], v[17:18], v[11:12]
	s_delay_alu instid0(VALU_DEP_2) | instskip(NEXT) | instid1(VALU_DEP_2)
	v_fma_f64 v[9:10], -v[7:8], v[19:20], v[9:10]
	v_fma_f64 v[11:12], v[5:6], v[19:20], v[11:12]
	global_store_b128 v[21:22], v[9:12], off
	s_branch .LBB9_8
.LBB9_25:
	s_endpgm
	.section	.rodata,"a",@progbits
	.p2align	6, 0x0
	.amdhsa_kernel _ZN9rocsparseL22bsrxmvn_general_kernelILj64ELj8E21rocsparse_complex_numIdEiiS2_S2_S2_EEv20rocsparse_direction_NS_24const_host_device_scalarIT1_EET3_PKS7_PKT2_SC_S9_PKT4_S7_PKT5_S6_PT6_21rocsparse_index_base_b
		.amdhsa_group_segment_fixed_size 0
		.amdhsa_private_segment_fixed_size 0
		.amdhsa_kernarg_size 120
		.amdhsa_user_sgpr_count 2
		.amdhsa_user_sgpr_dispatch_ptr 0
		.amdhsa_user_sgpr_queue_ptr 0
		.amdhsa_user_sgpr_kernarg_segment_ptr 1
		.amdhsa_user_sgpr_dispatch_id 0
		.amdhsa_user_sgpr_private_segment_size 0
		.amdhsa_wavefront_size32 1
		.amdhsa_uses_dynamic_stack 0
		.amdhsa_enable_private_segment 0
		.amdhsa_system_sgpr_workgroup_id_x 1
		.amdhsa_system_sgpr_workgroup_id_y 0
		.amdhsa_system_sgpr_workgroup_id_z 0
		.amdhsa_system_sgpr_workgroup_info 0
		.amdhsa_system_vgpr_workitem_id 0
		.amdhsa_next_free_vgpr 38
		.amdhsa_next_free_sgpr 30
		.amdhsa_reserve_vcc 1
		.amdhsa_float_round_mode_32 0
		.amdhsa_float_round_mode_16_64 0
		.amdhsa_float_denorm_mode_32 3
		.amdhsa_float_denorm_mode_16_64 3
		.amdhsa_fp16_overflow 0
		.amdhsa_workgroup_processor_mode 1
		.amdhsa_memory_ordered 1
		.amdhsa_forward_progress 1
		.amdhsa_inst_pref_size 12
		.amdhsa_round_robin_scheduling 0
		.amdhsa_exception_fp_ieee_invalid_op 0
		.amdhsa_exception_fp_denorm_src 0
		.amdhsa_exception_fp_ieee_div_zero 0
		.amdhsa_exception_fp_ieee_overflow 0
		.amdhsa_exception_fp_ieee_underflow 0
		.amdhsa_exception_fp_ieee_inexact 0
		.amdhsa_exception_int_div_zero 0
	.end_amdhsa_kernel
	.section	.text._ZN9rocsparseL22bsrxmvn_general_kernelILj64ELj8E21rocsparse_complex_numIdEiiS2_S2_S2_EEv20rocsparse_direction_NS_24const_host_device_scalarIT1_EET3_PKS7_PKT2_SC_S9_PKT4_S7_PKT5_S6_PT6_21rocsparse_index_base_b,"axG",@progbits,_ZN9rocsparseL22bsrxmvn_general_kernelILj64ELj8E21rocsparse_complex_numIdEiiS2_S2_S2_EEv20rocsparse_direction_NS_24const_host_device_scalarIT1_EET3_PKS7_PKT2_SC_S9_PKT4_S7_PKT5_S6_PT6_21rocsparse_index_base_b,comdat
.Lfunc_end9:
	.size	_ZN9rocsparseL22bsrxmvn_general_kernelILj64ELj8E21rocsparse_complex_numIdEiiS2_S2_S2_EEv20rocsparse_direction_NS_24const_host_device_scalarIT1_EET3_PKS7_PKT2_SC_S9_PKT4_S7_PKT5_S6_PT6_21rocsparse_index_base_b, .Lfunc_end9-_ZN9rocsparseL22bsrxmvn_general_kernelILj64ELj8E21rocsparse_complex_numIdEiiS2_S2_S2_EEv20rocsparse_direction_NS_24const_host_device_scalarIT1_EET3_PKS7_PKT2_SC_S9_PKT4_S7_PKT5_S6_PT6_21rocsparse_index_base_b
                                        ; -- End function
	.set _ZN9rocsparseL22bsrxmvn_general_kernelILj64ELj8E21rocsparse_complex_numIdEiiS2_S2_S2_EEv20rocsparse_direction_NS_24const_host_device_scalarIT1_EET3_PKS7_PKT2_SC_S9_PKT4_S7_PKT5_S6_PT6_21rocsparse_index_base_b.num_vgpr, 38
	.set _ZN9rocsparseL22bsrxmvn_general_kernelILj64ELj8E21rocsparse_complex_numIdEiiS2_S2_S2_EEv20rocsparse_direction_NS_24const_host_device_scalarIT1_EET3_PKS7_PKT2_SC_S9_PKT4_S7_PKT5_S6_PT6_21rocsparse_index_base_b.num_agpr, 0
	.set _ZN9rocsparseL22bsrxmvn_general_kernelILj64ELj8E21rocsparse_complex_numIdEiiS2_S2_S2_EEv20rocsparse_direction_NS_24const_host_device_scalarIT1_EET3_PKS7_PKT2_SC_S9_PKT4_S7_PKT5_S6_PT6_21rocsparse_index_base_b.numbered_sgpr, 30
	.set _ZN9rocsparseL22bsrxmvn_general_kernelILj64ELj8E21rocsparse_complex_numIdEiiS2_S2_S2_EEv20rocsparse_direction_NS_24const_host_device_scalarIT1_EET3_PKS7_PKT2_SC_S9_PKT4_S7_PKT5_S6_PT6_21rocsparse_index_base_b.num_named_barrier, 0
	.set _ZN9rocsparseL22bsrxmvn_general_kernelILj64ELj8E21rocsparse_complex_numIdEiiS2_S2_S2_EEv20rocsparse_direction_NS_24const_host_device_scalarIT1_EET3_PKS7_PKT2_SC_S9_PKT4_S7_PKT5_S6_PT6_21rocsparse_index_base_b.private_seg_size, 0
	.set _ZN9rocsparseL22bsrxmvn_general_kernelILj64ELj8E21rocsparse_complex_numIdEiiS2_S2_S2_EEv20rocsparse_direction_NS_24const_host_device_scalarIT1_EET3_PKS7_PKT2_SC_S9_PKT4_S7_PKT5_S6_PT6_21rocsparse_index_base_b.uses_vcc, 1
	.set _ZN9rocsparseL22bsrxmvn_general_kernelILj64ELj8E21rocsparse_complex_numIdEiiS2_S2_S2_EEv20rocsparse_direction_NS_24const_host_device_scalarIT1_EET3_PKS7_PKT2_SC_S9_PKT4_S7_PKT5_S6_PT6_21rocsparse_index_base_b.uses_flat_scratch, 0
	.set _ZN9rocsparseL22bsrxmvn_general_kernelILj64ELj8E21rocsparse_complex_numIdEiiS2_S2_S2_EEv20rocsparse_direction_NS_24const_host_device_scalarIT1_EET3_PKS7_PKT2_SC_S9_PKT4_S7_PKT5_S6_PT6_21rocsparse_index_base_b.has_dyn_sized_stack, 0
	.set _ZN9rocsparseL22bsrxmvn_general_kernelILj64ELj8E21rocsparse_complex_numIdEiiS2_S2_S2_EEv20rocsparse_direction_NS_24const_host_device_scalarIT1_EET3_PKS7_PKT2_SC_S9_PKT4_S7_PKT5_S6_PT6_21rocsparse_index_base_b.has_recursion, 0
	.set _ZN9rocsparseL22bsrxmvn_general_kernelILj64ELj8E21rocsparse_complex_numIdEiiS2_S2_S2_EEv20rocsparse_direction_NS_24const_host_device_scalarIT1_EET3_PKS7_PKT2_SC_S9_PKT4_S7_PKT5_S6_PT6_21rocsparse_index_base_b.has_indirect_call, 0
	.section	.AMDGPU.csdata,"",@progbits
; Kernel info:
; codeLenInByte = 1512
; TotalNumSgprs: 32
; NumVgprs: 38
; ScratchSize: 0
; MemoryBound: 0
; FloatMode: 240
; IeeeMode: 1
; LDSByteSize: 0 bytes/workgroup (compile time only)
; SGPRBlocks: 0
; VGPRBlocks: 4
; NumSGPRsForWavesPerEU: 32
; NumVGPRsForWavesPerEU: 38
; Occupancy: 16
; WaveLimiterHint : 1
; COMPUTE_PGM_RSRC2:SCRATCH_EN: 0
; COMPUTE_PGM_RSRC2:USER_SGPR: 2
; COMPUTE_PGM_RSRC2:TRAP_HANDLER: 0
; COMPUTE_PGM_RSRC2:TGID_X_EN: 1
; COMPUTE_PGM_RSRC2:TGID_Y_EN: 0
; COMPUTE_PGM_RSRC2:TGID_Z_EN: 0
; COMPUTE_PGM_RSRC2:TIDIG_COMP_CNT: 0
	.section	.text._ZN9rocsparseL22bsrxmvn_general_kernelILj256ELj16E21rocsparse_complex_numIdEiiS2_S2_S2_EEv20rocsparse_direction_NS_24const_host_device_scalarIT1_EET3_PKS7_PKT2_SC_S9_PKT4_S7_PKT5_S6_PT6_21rocsparse_index_base_b,"axG",@progbits,_ZN9rocsparseL22bsrxmvn_general_kernelILj256ELj16E21rocsparse_complex_numIdEiiS2_S2_S2_EEv20rocsparse_direction_NS_24const_host_device_scalarIT1_EET3_PKS7_PKT2_SC_S9_PKT4_S7_PKT5_S6_PT6_21rocsparse_index_base_b,comdat
	.globl	_ZN9rocsparseL22bsrxmvn_general_kernelILj256ELj16E21rocsparse_complex_numIdEiiS2_S2_S2_EEv20rocsparse_direction_NS_24const_host_device_scalarIT1_EET3_PKS7_PKT2_SC_S9_PKT4_S7_PKT5_S6_PT6_21rocsparse_index_base_b ; -- Begin function _ZN9rocsparseL22bsrxmvn_general_kernelILj256ELj16E21rocsparse_complex_numIdEiiS2_S2_S2_EEv20rocsparse_direction_NS_24const_host_device_scalarIT1_EET3_PKS7_PKT2_SC_S9_PKT4_S7_PKT5_S6_PT6_21rocsparse_index_base_b
	.p2align	8
	.type	_ZN9rocsparseL22bsrxmvn_general_kernelILj256ELj16E21rocsparse_complex_numIdEiiS2_S2_S2_EEv20rocsparse_direction_NS_24const_host_device_scalarIT1_EET3_PKS7_PKT2_SC_S9_PKT4_S7_PKT5_S6_PT6_21rocsparse_index_base_b,@function
_ZN9rocsparseL22bsrxmvn_general_kernelILj256ELj16E21rocsparse_complex_numIdEiiS2_S2_S2_EEv20rocsparse_direction_NS_24const_host_device_scalarIT1_EET3_PKS7_PKT2_SC_S9_PKT4_S7_PKT5_S6_PT6_21rocsparse_index_base_b: ; @_ZN9rocsparseL22bsrxmvn_general_kernelILj256ELj16E21rocsparse_complex_numIdEiiS2_S2_S2_EEv20rocsparse_direction_NS_24const_host_device_scalarIT1_EET3_PKS7_PKT2_SC_S9_PKT4_S7_PKT5_S6_PT6_21rocsparse_index_base_b
; %bb.0:
	s_clause 0x1
	s_load_b64 s[12:13], s[0:1], 0x70
	s_load_b64 s[2:3], s[0:1], 0x8
	s_add_nc_u64 s[4:5], s[0:1], 8
	s_load_b64 s[6:7], s[0:1], 0x58
	s_wait_kmcnt 0x0
	s_bitcmp1_b32 s13, 0
	s_cselect_b32 s2, s4, s2
	s_cselect_b32 s3, s5, s3
	s_delay_alu instid0(SALU_CYCLE_1)
	v_dual_mov_b32 v1, s2 :: v_dual_mov_b32 v2, s3
	s_add_nc_u64 s[2:3], s[0:1], 0x58
	s_wait_alu 0xfffe
	s_cselect_b32 s2, s2, s6
	s_cselect_b32 s3, s3, s7
	flat_load_b128 v[1:4], v[1:2]
	s_wait_alu 0xfffe
	v_dual_mov_b32 v5, s2 :: v_dual_mov_b32 v6, s3
	flat_load_b128 v[5:8], v[5:6]
	s_wait_loadcnt_dscnt 0x101
	v_cmp_eq_f64_e32 vcc_lo, 0, v[1:2]
	v_cmp_eq_f64_e64 s2, 0, v[3:4]
	s_and_b32 s4, vcc_lo, s2
	s_mov_b32 s2, -1
	s_and_saveexec_b32 s3, s4
	s_cbranch_execz .LBB10_2
; %bb.1:
	s_wait_loadcnt_dscnt 0x0
	v_cmp_neq_f64_e32 vcc_lo, 1.0, v[5:6]
	v_cmp_neq_f64_e64 s2, 0, v[7:8]
	s_wait_alu 0xfffe
	s_or_b32 s2, vcc_lo, s2
	s_wait_alu 0xfffe
	s_or_not1_b32 s2, s2, exec_lo
.LBB10_2:
	s_wait_alu 0xfffe
	s_or_b32 exec_lo, exec_lo, s3
	s_and_saveexec_b32 s3, s2
	s_cbranch_execz .LBB10_25
; %bb.3:
	s_load_b64 s[2:3], s[0:1], 0x20
	s_wait_kmcnt 0x0
	s_cmp_eq_u64 s[2:3], 0
	s_cbranch_scc1 .LBB10_5
; %bb.4:
	s_mov_b32 s4, ttmp9
	s_ashr_i32 s5, ttmp9, 31
	s_delay_alu instid0(SALU_CYCLE_1) | instskip(NEXT) | instid1(SALU_CYCLE_1)
	s_lshl_b64 s[4:5], s[4:5], 2
	s_add_nc_u64 s[2:3], s[2:3], s[4:5]
	s_load_b32 s2, s[2:3], 0x0
	s_wait_kmcnt 0x0
	s_sub_co_i32 s18, s2, s12
	s_branch .LBB10_6
.LBB10_5:
	s_mov_b32 s18, ttmp9
.LBB10_6:
	s_load_b32 s14, s[0:1], 0x48
	v_lshrrev_b32_e32 v13, 4, v0
	s_wait_kmcnt 0x0
	s_delay_alu instid0(VALU_DEP_1)
	v_cmp_gt_i32_e32 vcc_lo, s14, v13
	s_and_b32 exec_lo, exec_lo, vcc_lo
	s_cbranch_execz .LBB10_25
; %bb.7:
	s_load_b256 s[4:11], s[0:1], 0x28
	s_ashr_i32 s19, s18, 31
	v_mbcnt_lo_u32_b32 v9, -1, 0
	s_lshl_b64 s[20:21], s[18:19], 2
	s_wait_loadcnt_dscnt 0x0
	v_cmp_eq_f64_e32 vcc_lo, 0, v[5:6]
	v_cmp_eq_f64_e64 s2, 0, v[7:8]
	s_mul_i32 s13, s18, s14
	v_xor_b32_e32 v10, 8, v9
	s_load_b32 s24, s[0:1], 0x0
	v_xor_b32_e32 v11, 4, v9
	v_xor_b32_e32 v12, 2, v9
	;; [unrolled: 1-line block ×3, first 2 shown]
	v_cmp_gt_i32_e64 s3, 32, v10
	v_dual_mov_b32 v14, 0 :: v_dual_and_b32 v15, 15, v0
	v_mul_lo_u32 v0, s14, v13
	s_mov_b32 s15, 0
	s_wait_alu 0xf1ff
	v_cndmask_b32_e64 v10, v9, v10, s3
	v_cmp_gt_i32_e64 s3, 32, v11
	v_mul_lo_u32 v23, s14, v15
	s_wait_kmcnt 0x0
	s_add_nc_u64 s[22:23], s[4:5], s[20:21]
	s_load_b32 s19, s[22:23], 0x0
	s_clause 0x1
	s_load_b64 s[4:5], s[0:1], 0x68
	s_load_b64 s[16:17], s[0:1], 0x50
	s_add_nc_u64 s[0:1], s[6:7], s[20:21]
	s_add_nc_u64 s[20:21], s[22:23], 4
	v_cndmask_b32_e64 v11, v9, v11, s3
	v_cmp_gt_i32_e64 s3, 32, v12
	v_mov_b32_e32 v16, v14
	v_lshlrev_b32_e32 v24, 2, v10
	s_delay_alu instid0(VALU_DEP_4) | instskip(SKIP_3) | instid1(VALU_DEP_2)
	v_lshlrev_b32_e32 v25, 2, v11
	s_wait_alu 0xf1ff
	v_cndmask_b32_e64 v12, v9, v12, s3
	v_cmp_gt_i32_e64 s3, 32, v17
	v_lshlrev_b32_e32 v26, 2, v12
	s_wait_alu 0xf1ff
	s_delay_alu instid0(VALU_DEP_2) | instskip(SKIP_3) | instid1(VALU_DEP_1)
	v_cndmask_b32_e64 v9, v9, v17, s3
	s_wait_kmcnt 0x0
	s_sub_co_i32 s18, s19, s12
	s_cmp_eq_u64 s[6:7], 0
	v_lshlrev_b32_e32 v27, 2, v9
	s_cselect_b32 s1, s21, s1
	s_cselect_b32 s0, s20, s0
	s_mul_u64 s[6:7], s[14:15], s[14:15]
	s_load_b32 s20, s[0:1], 0x0
	v_cmp_gt_u32_e64 s0, s14, v15
	v_cmp_eq_u32_e64 s1, 15, v15
	s_wait_kmcnt 0x0
	s_sub_co_i32 s22, s20, s12
	s_cmp_lt_i32 s19, s20
	s_cselect_b32 s23, -1, 0
	s_cmp_lg_u32 s24, 0
	s_cselect_b32 s24, -1, 0
	s_ashr_i32 s19, s18, 31
	s_and_b32 s25, vcc_lo, s2
	s_mul_u64 s[2:3], s[18:19], s[6:7]
	s_lshl_b32 s19, s14, 4
	s_branch .LBB10_9
.LBB10_8:                               ;   in Loop: Header=BB10_9 Depth=1
	s_wait_alu 0xfffe
	s_or_b32 exec_lo, exec_lo, s20
	v_add_nc_u32_e32 v13, 16, v13
	v_add_nc_u32_e32 v0, s19, v0
	s_delay_alu instid0(VALU_DEP_2)
	v_cmp_le_i32_e32 vcc_lo, s14, v13
	s_or_b32 s15, vcc_lo, s15
	s_wait_alu 0xfffe
	s_and_not1_b32 exec_lo, exec_lo, s15
	s_cbranch_execz .LBB10_25
.LBB10_9:                               ; =>This Loop Header: Depth=1
                                        ;     Child Loop BB10_13 Depth 2
                                        ;       Child Loop BB10_16 Depth 3
	v_mov_b32_e32 v9, 0
	v_dual_mov_b32 v10, 0 :: v_dual_mov_b32 v11, 0
	v_mov_b32_e32 v12, 0
	s_and_not1_b32 vcc_lo, exec_lo, s23
	s_wait_alu 0xfffe
	s_cbranch_vccnz .LBB10_20
; %bb.10:                               ;   in Loop: Header=BB10_9 Depth=1
	s_wait_dscnt 0x3
	v_ashrrev_i32_e32 v17, 31, v0
	v_mov_b32_e32 v9, 0
	v_add_co_u32 v28, vcc_lo, s2, v0
	v_dual_mov_b32 v10, 0 :: v_dual_mov_b32 v11, 0
	v_mov_b32_e32 v12, 0
	s_wait_alu 0xfffd
	v_add_co_ci_u32_e64 v29, null, s3, v17, vcc_lo
	s_mov_b32 s20, s18
	s_branch .LBB10_13
.LBB10_11:                              ;   in Loop: Header=BB10_13 Depth=2
	s_or_b32 exec_lo, exec_lo, s21
.LBB10_12:                              ;   in Loop: Header=BB10_13 Depth=2
	s_wait_alu 0xfffe
	s_or_b32 exec_lo, exec_lo, s26
	v_add_co_u32 v28, vcc_lo, v28, s6
	s_wait_alu 0xfffd
	v_add_co_ci_u32_e64 v29, null, s7, v29, vcc_lo
	s_add_co_i32 s20, s20, 1
	s_wait_alu 0xfffe
	s_cmp_ge_i32 s20, s22
	s_cbranch_scc1 .LBB10_20
.LBB10_13:                              ;   Parent Loop BB10_9 Depth=1
                                        ; =>  This Loop Header: Depth=2
                                        ;       Child Loop BB10_16 Depth 3
	s_and_saveexec_b32 s26, s0
	s_cbranch_execz .LBB10_12
; %bb.14:                               ;   in Loop: Header=BB10_13 Depth=2
	s_wait_alu 0xfffe
	s_ashr_i32 s21, s20, 31
	s_wait_dscnt 0x2
	v_mad_co_u64_u32 v[17:18], null, s6, s20, v[13:14]
	s_wait_alu 0xfffe
	s_lshl_b64 s[28:29], s[20:21], 2
	s_mul_i32 s21, s6, s21
	s_wait_alu 0xfffe
	s_add_nc_u64 s[28:29], s[8:9], s[28:29]
	s_wait_dscnt 0x0
	v_mov_b32_e32 v20, v16
	s_load_b32 s27, s[28:29], 0x0
	s_mul_i32 s28, s7, s20
	v_dual_mov_b32 v30, v23 :: v_dual_mov_b32 v19, v15
	s_wait_alu 0xfffe
	v_add3_u32 v18, s21, s28, v18
	s_wait_kmcnt 0x0
	s_sub_co_i32 s21, s27, s12
	s_wait_alu 0xfffe
	s_mul_i32 s27, s21, s14
	s_mov_b32 s21, 0
	s_branch .LBB10_16
.LBB10_15:                              ;   in Loop: Header=BB10_16 Depth=3
	v_add_nc_u32_e32 v31, s27, v19
	s_delay_alu instid0(VALU_DEP_2) | instskip(SKIP_1) | instid1(VALU_DEP_3)
	v_lshlrev_b64_e32 v[21:22], 4, v[21:22]
	v_add_nc_u32_e32 v30, s19, v30
	v_ashrrev_i32_e32 v32, 31, v31
	s_delay_alu instid0(VALU_DEP_3) | instskip(SKIP_1) | instid1(VALU_DEP_4)
	v_add_co_u32 v21, vcc_lo, s10, v21
	s_wait_alu 0xfffd
	v_add_co_ci_u32_e64 v22, null, s11, v22, vcc_lo
	s_delay_alu instid0(VALU_DEP_3) | instskip(NEXT) | instid1(VALU_DEP_1)
	v_lshlrev_b64_e32 v[31:32], 4, v[31:32]
	v_add_co_u32 v35, vcc_lo, s16, v31
	s_wait_alu 0xfffd
	s_delay_alu instid0(VALU_DEP_2)
	v_add_co_ci_u32_e64 v36, null, s17, v32, vcc_lo
	v_add_co_u32 v19, vcc_lo, v19, 16
	global_load_b128 v[31:34], v[21:22], off
	global_load_b128 v[35:38], v[35:36], off
	s_wait_alu 0xfffd
	v_add_co_ci_u32_e64 v20, null, 0, v20, vcc_lo
	v_cmp_le_i32_e32 vcc_lo, s14, v19
	s_or_b32 s21, vcc_lo, s21
	s_wait_loadcnt 0x0
	v_fma_f64 v[11:12], v[31:32], v[35:36], v[11:12]
	v_fma_f64 v[9:10], v[33:34], v[35:36], v[9:10]
	s_delay_alu instid0(VALU_DEP_2) | instskip(NEXT) | instid1(VALU_DEP_2)
	v_fma_f64 v[11:12], -v[33:34], v[37:38], v[11:12]
	v_fma_f64 v[9:10], v[31:32], v[37:38], v[9:10]
	s_wait_alu 0xfffe
	s_and_not1_b32 exec_lo, exec_lo, s21
	s_cbranch_execz .LBB10_11
.LBB10_16:                              ;   Parent Loop BB10_9 Depth=1
                                        ;     Parent Loop BB10_13 Depth=2
                                        ; =>    This Inner Loop Header: Depth=3
	s_and_b32 vcc_lo, exec_lo, s24
	s_wait_alu 0xfffe
	s_cbranch_vccz .LBB10_18
; %bb.17:                               ;   in Loop: Header=BB10_16 Depth=3
	v_ashrrev_i32_e32 v22, 31, v30
	v_add_co_u32 v21, vcc_lo, v17, v30
	s_wait_alu 0xfffd
	s_delay_alu instid0(VALU_DEP_2)
	v_add_co_ci_u32_e64 v22, null, v18, v22, vcc_lo
	s_cbranch_execnz .LBB10_15
	s_branch .LBB10_19
.LBB10_18:                              ;   in Loop: Header=BB10_16 Depth=3
                                        ; implicit-def: $vgpr21_vgpr22
.LBB10_19:                              ;   in Loop: Header=BB10_16 Depth=3
	v_add_co_u32 v21, vcc_lo, v28, v19
	s_wait_alu 0xfffd
	v_add_co_ci_u32_e64 v22, null, v29, v20, vcc_lo
	s_branch .LBB10_15
.LBB10_20:                              ;   in Loop: Header=BB10_9 Depth=1
	s_wait_dscnt 0x3
	ds_bpermute_b32 v17, v24, v11
	s_wait_dscnt 0x3
	ds_bpermute_b32 v18, v24, v12
	;; [unrolled: 2-line block ×4, first 2 shown]
	s_wait_dscnt 0x2
	v_add_f64_e32 v[11:12], v[11:12], v[17:18]
	s_wait_dscnt 0x0
	v_add_f64_e32 v[9:10], v[9:10], v[19:20]
	ds_bpermute_b32 v17, v25, v11
	ds_bpermute_b32 v18, v25, v12
	ds_bpermute_b32 v19, v25, v9
	ds_bpermute_b32 v20, v25, v10
	s_wait_dscnt 0x2
	v_add_f64_e32 v[11:12], v[11:12], v[17:18]
	s_wait_dscnt 0x0
	v_add_f64_e32 v[17:18], v[9:10], v[19:20]
	ds_bpermute_b32 v9, v26, v11
	ds_bpermute_b32 v10, v26, v12
	ds_bpermute_b32 v19, v26, v17
	ds_bpermute_b32 v20, v26, v18
	;; [unrolled: 8-line block ×3, first 2 shown]
	s_and_saveexec_b32 s20, s1
	s_cbranch_execz .LBB10_8
; %bb.21:                               ;   in Loop: Header=BB10_9 Depth=1
	s_wait_dscnt 0x0
	v_add_f64_e32 v[11:12], v[11:12], v[19:20]
	v_add_f64_e32 v[17:18], v[9:10], v[17:18]
	s_delay_alu instid0(VALU_DEP_2) | instskip(SKIP_1) | instid1(VALU_DEP_2)
	v_mul_f64_e64 v[9:10], v[11:12], -v[3:4]
	v_mul_f64_e32 v[11:12], v[1:2], v[11:12]
	v_fma_f64 v[9:10], v[1:2], v[17:18], v[9:10]
	s_delay_alu instid0(VALU_DEP_2) | instskip(SKIP_1) | instid1(VALU_DEP_1)
	v_fma_f64 v[11:12], v[3:4], v[17:18], v[11:12]
	v_add_nc_u32_e32 v17, s13, v13
	v_ashrrev_i32_e32 v18, 31, v17
	s_and_saveexec_b32 s21, s25
	s_wait_alu 0xfffe
	s_xor_b32 s21, exec_lo, s21
	s_cbranch_execz .LBB10_23
; %bb.22:                               ;   in Loop: Header=BB10_9 Depth=1
	v_lshlrev_b64_e32 v[17:18], 4, v[17:18]
	s_delay_alu instid0(VALU_DEP_1) | instskip(SKIP_1) | instid1(VALU_DEP_2)
	v_add_co_u32 v17, vcc_lo, s4, v17
	s_wait_alu 0xfffd
	v_add_co_ci_u32_e64 v18, null, s5, v18, vcc_lo
	global_store_b128 v[17:18], v[9:12], off
                                        ; implicit-def: $vgpr17
                                        ; implicit-def: $vgpr9_vgpr10
.LBB10_23:                              ;   in Loop: Header=BB10_9 Depth=1
	s_wait_alu 0xfffe
	s_and_not1_saveexec_b32 s21, s21
	s_cbranch_execz .LBB10_8
; %bb.24:                               ;   in Loop: Header=BB10_9 Depth=1
	v_lshlrev_b64_e32 v[17:18], 4, v[17:18]
	s_delay_alu instid0(VALU_DEP_1) | instskip(SKIP_1) | instid1(VALU_DEP_2)
	v_add_co_u32 v21, vcc_lo, s4, v17
	s_wait_alu 0xfffd
	v_add_co_ci_u32_e64 v22, null, s5, v18, vcc_lo
	global_load_b128 v[17:20], v[21:22], off
	s_wait_loadcnt 0x0
	v_fma_f64 v[9:10], v[5:6], v[17:18], v[9:10]
	v_fma_f64 v[11:12], v[7:8], v[17:18], v[11:12]
	s_delay_alu instid0(VALU_DEP_2) | instskip(NEXT) | instid1(VALU_DEP_2)
	v_fma_f64 v[9:10], -v[7:8], v[19:20], v[9:10]
	v_fma_f64 v[11:12], v[5:6], v[19:20], v[11:12]
	global_store_b128 v[21:22], v[9:12], off
	s_branch .LBB10_8
.LBB10_25:
	s_endpgm
	.section	.rodata,"a",@progbits
	.p2align	6, 0x0
	.amdhsa_kernel _ZN9rocsparseL22bsrxmvn_general_kernelILj256ELj16E21rocsparse_complex_numIdEiiS2_S2_S2_EEv20rocsparse_direction_NS_24const_host_device_scalarIT1_EET3_PKS7_PKT2_SC_S9_PKT4_S7_PKT5_S6_PT6_21rocsparse_index_base_b
		.amdhsa_group_segment_fixed_size 0
		.amdhsa_private_segment_fixed_size 0
		.amdhsa_kernarg_size 120
		.amdhsa_user_sgpr_count 2
		.amdhsa_user_sgpr_dispatch_ptr 0
		.amdhsa_user_sgpr_queue_ptr 0
		.amdhsa_user_sgpr_kernarg_segment_ptr 1
		.amdhsa_user_sgpr_dispatch_id 0
		.amdhsa_user_sgpr_private_segment_size 0
		.amdhsa_wavefront_size32 1
		.amdhsa_uses_dynamic_stack 0
		.amdhsa_enable_private_segment 0
		.amdhsa_system_sgpr_workgroup_id_x 1
		.amdhsa_system_sgpr_workgroup_id_y 0
		.amdhsa_system_sgpr_workgroup_id_z 0
		.amdhsa_system_sgpr_workgroup_info 0
		.amdhsa_system_vgpr_workitem_id 0
		.amdhsa_next_free_vgpr 39
		.amdhsa_next_free_sgpr 30
		.amdhsa_reserve_vcc 1
		.amdhsa_float_round_mode_32 0
		.amdhsa_float_round_mode_16_64 0
		.amdhsa_float_denorm_mode_32 3
		.amdhsa_float_denorm_mode_16_64 3
		.amdhsa_fp16_overflow 0
		.amdhsa_workgroup_processor_mode 1
		.amdhsa_memory_ordered 1
		.amdhsa_forward_progress 1
		.amdhsa_inst_pref_size 13
		.amdhsa_round_robin_scheduling 0
		.amdhsa_exception_fp_ieee_invalid_op 0
		.amdhsa_exception_fp_denorm_src 0
		.amdhsa_exception_fp_ieee_div_zero 0
		.amdhsa_exception_fp_ieee_overflow 0
		.amdhsa_exception_fp_ieee_underflow 0
		.amdhsa_exception_fp_ieee_inexact 0
		.amdhsa_exception_int_div_zero 0
	.end_amdhsa_kernel
	.section	.text._ZN9rocsparseL22bsrxmvn_general_kernelILj256ELj16E21rocsparse_complex_numIdEiiS2_S2_S2_EEv20rocsparse_direction_NS_24const_host_device_scalarIT1_EET3_PKS7_PKT2_SC_S9_PKT4_S7_PKT5_S6_PT6_21rocsparse_index_base_b,"axG",@progbits,_ZN9rocsparseL22bsrxmvn_general_kernelILj256ELj16E21rocsparse_complex_numIdEiiS2_S2_S2_EEv20rocsparse_direction_NS_24const_host_device_scalarIT1_EET3_PKS7_PKT2_SC_S9_PKT4_S7_PKT5_S6_PT6_21rocsparse_index_base_b,comdat
.Lfunc_end10:
	.size	_ZN9rocsparseL22bsrxmvn_general_kernelILj256ELj16E21rocsparse_complex_numIdEiiS2_S2_S2_EEv20rocsparse_direction_NS_24const_host_device_scalarIT1_EET3_PKS7_PKT2_SC_S9_PKT4_S7_PKT5_S6_PT6_21rocsparse_index_base_b, .Lfunc_end10-_ZN9rocsparseL22bsrxmvn_general_kernelILj256ELj16E21rocsparse_complex_numIdEiiS2_S2_S2_EEv20rocsparse_direction_NS_24const_host_device_scalarIT1_EET3_PKS7_PKT2_SC_S9_PKT4_S7_PKT5_S6_PT6_21rocsparse_index_base_b
                                        ; -- End function
	.set _ZN9rocsparseL22bsrxmvn_general_kernelILj256ELj16E21rocsparse_complex_numIdEiiS2_S2_S2_EEv20rocsparse_direction_NS_24const_host_device_scalarIT1_EET3_PKS7_PKT2_SC_S9_PKT4_S7_PKT5_S6_PT6_21rocsparse_index_base_b.num_vgpr, 39
	.set _ZN9rocsparseL22bsrxmvn_general_kernelILj256ELj16E21rocsparse_complex_numIdEiiS2_S2_S2_EEv20rocsparse_direction_NS_24const_host_device_scalarIT1_EET3_PKS7_PKT2_SC_S9_PKT4_S7_PKT5_S6_PT6_21rocsparse_index_base_b.num_agpr, 0
	.set _ZN9rocsparseL22bsrxmvn_general_kernelILj256ELj16E21rocsparse_complex_numIdEiiS2_S2_S2_EEv20rocsparse_direction_NS_24const_host_device_scalarIT1_EET3_PKS7_PKT2_SC_S9_PKT4_S7_PKT5_S6_PT6_21rocsparse_index_base_b.numbered_sgpr, 30
	.set _ZN9rocsparseL22bsrxmvn_general_kernelILj256ELj16E21rocsparse_complex_numIdEiiS2_S2_S2_EEv20rocsparse_direction_NS_24const_host_device_scalarIT1_EET3_PKS7_PKT2_SC_S9_PKT4_S7_PKT5_S6_PT6_21rocsparse_index_base_b.num_named_barrier, 0
	.set _ZN9rocsparseL22bsrxmvn_general_kernelILj256ELj16E21rocsparse_complex_numIdEiiS2_S2_S2_EEv20rocsparse_direction_NS_24const_host_device_scalarIT1_EET3_PKS7_PKT2_SC_S9_PKT4_S7_PKT5_S6_PT6_21rocsparse_index_base_b.private_seg_size, 0
	.set _ZN9rocsparseL22bsrxmvn_general_kernelILj256ELj16E21rocsparse_complex_numIdEiiS2_S2_S2_EEv20rocsparse_direction_NS_24const_host_device_scalarIT1_EET3_PKS7_PKT2_SC_S9_PKT4_S7_PKT5_S6_PT6_21rocsparse_index_base_b.uses_vcc, 1
	.set _ZN9rocsparseL22bsrxmvn_general_kernelILj256ELj16E21rocsparse_complex_numIdEiiS2_S2_S2_EEv20rocsparse_direction_NS_24const_host_device_scalarIT1_EET3_PKS7_PKT2_SC_S9_PKT4_S7_PKT5_S6_PT6_21rocsparse_index_base_b.uses_flat_scratch, 0
	.set _ZN9rocsparseL22bsrxmvn_general_kernelILj256ELj16E21rocsparse_complex_numIdEiiS2_S2_S2_EEv20rocsparse_direction_NS_24const_host_device_scalarIT1_EET3_PKS7_PKT2_SC_S9_PKT4_S7_PKT5_S6_PT6_21rocsparse_index_base_b.has_dyn_sized_stack, 0
	.set _ZN9rocsparseL22bsrxmvn_general_kernelILj256ELj16E21rocsparse_complex_numIdEiiS2_S2_S2_EEv20rocsparse_direction_NS_24const_host_device_scalarIT1_EET3_PKS7_PKT2_SC_S9_PKT4_S7_PKT5_S6_PT6_21rocsparse_index_base_b.has_recursion, 0
	.set _ZN9rocsparseL22bsrxmvn_general_kernelILj256ELj16E21rocsparse_complex_numIdEiiS2_S2_S2_EEv20rocsparse_direction_NS_24const_host_device_scalarIT1_EET3_PKS7_PKT2_SC_S9_PKT4_S7_PKT5_S6_PT6_21rocsparse_index_base_b.has_indirect_call, 0
	.section	.AMDGPU.csdata,"",@progbits
; Kernel info:
; codeLenInByte = 1584
; TotalNumSgprs: 32
; NumVgprs: 39
; ScratchSize: 0
; MemoryBound: 0
; FloatMode: 240
; IeeeMode: 1
; LDSByteSize: 0 bytes/workgroup (compile time only)
; SGPRBlocks: 0
; VGPRBlocks: 4
; NumSGPRsForWavesPerEU: 32
; NumVGPRsForWavesPerEU: 39
; Occupancy: 16
; WaveLimiterHint : 1
; COMPUTE_PGM_RSRC2:SCRATCH_EN: 0
; COMPUTE_PGM_RSRC2:USER_SGPR: 2
; COMPUTE_PGM_RSRC2:TRAP_HANDLER: 0
; COMPUTE_PGM_RSRC2:TGID_X_EN: 1
; COMPUTE_PGM_RSRC2:TGID_Y_EN: 0
; COMPUTE_PGM_RSRC2:TGID_Z_EN: 0
; COMPUTE_PGM_RSRC2:TIDIG_COMP_CNT: 0
	.section	.text._ZN9rocsparseL22bsrxmvn_general_kernelILj1024ELj32E21rocsparse_complex_numIdEiiS2_S2_S2_EEv20rocsparse_direction_NS_24const_host_device_scalarIT1_EET3_PKS7_PKT2_SC_S9_PKT4_S7_PKT5_S6_PT6_21rocsparse_index_base_b,"axG",@progbits,_ZN9rocsparseL22bsrxmvn_general_kernelILj1024ELj32E21rocsparse_complex_numIdEiiS2_S2_S2_EEv20rocsparse_direction_NS_24const_host_device_scalarIT1_EET3_PKS7_PKT2_SC_S9_PKT4_S7_PKT5_S6_PT6_21rocsparse_index_base_b,comdat
	.globl	_ZN9rocsparseL22bsrxmvn_general_kernelILj1024ELj32E21rocsparse_complex_numIdEiiS2_S2_S2_EEv20rocsparse_direction_NS_24const_host_device_scalarIT1_EET3_PKS7_PKT2_SC_S9_PKT4_S7_PKT5_S6_PT6_21rocsparse_index_base_b ; -- Begin function _ZN9rocsparseL22bsrxmvn_general_kernelILj1024ELj32E21rocsparse_complex_numIdEiiS2_S2_S2_EEv20rocsparse_direction_NS_24const_host_device_scalarIT1_EET3_PKS7_PKT2_SC_S9_PKT4_S7_PKT5_S6_PT6_21rocsparse_index_base_b
	.p2align	8
	.type	_ZN9rocsparseL22bsrxmvn_general_kernelILj1024ELj32E21rocsparse_complex_numIdEiiS2_S2_S2_EEv20rocsparse_direction_NS_24const_host_device_scalarIT1_EET3_PKS7_PKT2_SC_S9_PKT4_S7_PKT5_S6_PT6_21rocsparse_index_base_b,@function
_ZN9rocsparseL22bsrxmvn_general_kernelILj1024ELj32E21rocsparse_complex_numIdEiiS2_S2_S2_EEv20rocsparse_direction_NS_24const_host_device_scalarIT1_EET3_PKS7_PKT2_SC_S9_PKT4_S7_PKT5_S6_PT6_21rocsparse_index_base_b: ; @_ZN9rocsparseL22bsrxmvn_general_kernelILj1024ELj32E21rocsparse_complex_numIdEiiS2_S2_S2_EEv20rocsparse_direction_NS_24const_host_device_scalarIT1_EET3_PKS7_PKT2_SC_S9_PKT4_S7_PKT5_S6_PT6_21rocsparse_index_base_b
; %bb.0:
	s_clause 0x1
	s_load_b64 s[12:13], s[0:1], 0x70
	s_load_b64 s[2:3], s[0:1], 0x8
	s_add_nc_u64 s[4:5], s[0:1], 8
	s_load_b64 s[6:7], s[0:1], 0x58
	s_wait_kmcnt 0x0
	s_bitcmp1_b32 s13, 0
	s_cselect_b32 s2, s4, s2
	s_cselect_b32 s3, s5, s3
	s_delay_alu instid0(SALU_CYCLE_1)
	v_dual_mov_b32 v1, s2 :: v_dual_mov_b32 v2, s3
	s_add_nc_u64 s[2:3], s[0:1], 0x58
	s_wait_alu 0xfffe
	s_cselect_b32 s2, s2, s6
	s_cselect_b32 s3, s3, s7
	flat_load_b128 v[1:4], v[1:2]
	s_wait_alu 0xfffe
	v_dual_mov_b32 v5, s2 :: v_dual_mov_b32 v6, s3
	flat_load_b128 v[5:8], v[5:6]
	s_wait_loadcnt_dscnt 0x101
	v_cmp_eq_f64_e32 vcc_lo, 0, v[1:2]
	v_cmp_eq_f64_e64 s2, 0, v[3:4]
	s_and_b32 s4, vcc_lo, s2
	s_mov_b32 s2, -1
	s_and_saveexec_b32 s3, s4
	s_cbranch_execz .LBB11_2
; %bb.1:
	s_wait_loadcnt_dscnt 0x0
	v_cmp_neq_f64_e32 vcc_lo, 1.0, v[5:6]
	v_cmp_neq_f64_e64 s2, 0, v[7:8]
	s_wait_alu 0xfffe
	s_or_b32 s2, vcc_lo, s2
	s_wait_alu 0xfffe
	s_or_not1_b32 s2, s2, exec_lo
.LBB11_2:
	s_wait_alu 0xfffe
	s_or_b32 exec_lo, exec_lo, s3
	s_and_saveexec_b32 s3, s2
	s_cbranch_execz .LBB11_25
; %bb.3:
	s_load_b64 s[2:3], s[0:1], 0x20
	s_wait_kmcnt 0x0
	s_cmp_eq_u64 s[2:3], 0
	s_cbranch_scc1 .LBB11_5
; %bb.4:
	s_mov_b32 s4, ttmp9
	s_ashr_i32 s5, ttmp9, 31
	s_delay_alu instid0(SALU_CYCLE_1) | instskip(NEXT) | instid1(SALU_CYCLE_1)
	s_lshl_b64 s[4:5], s[4:5], 2
	s_add_nc_u64 s[2:3], s[2:3], s[4:5]
	s_load_b32 s2, s[2:3], 0x0
	s_wait_kmcnt 0x0
	s_sub_co_i32 s18, s2, s12
	s_branch .LBB11_6
.LBB11_5:
	s_mov_b32 s18, ttmp9
.LBB11_6:
	s_load_b32 s14, s[0:1], 0x48
	v_lshrrev_b32_e32 v13, 5, v0
	s_wait_kmcnt 0x0
	s_delay_alu instid0(VALU_DEP_1)
	v_cmp_gt_i32_e32 vcc_lo, s14, v13
	s_and_b32 exec_lo, exec_lo, vcc_lo
	s_cbranch_execz .LBB11_25
; %bb.7:
	s_load_b256 s[4:11], s[0:1], 0x28
	s_ashr_i32 s19, s18, 31
	v_mbcnt_lo_u32_b32 v9, -1, 0
	s_lshl_b64 s[20:21], s[18:19], 2
	s_wait_loadcnt_dscnt 0x0
	v_cmp_eq_f64_e32 vcc_lo, 0, v[5:6]
	v_cmp_eq_f64_e64 s2, 0, v[7:8]
	s_load_b32 s27, s[0:1], 0x0
	v_xor_b32_e32 v10, 16, v9
	v_xor_b32_e32 v11, 8, v9
	;; [unrolled: 1-line block ×5, first 2 shown]
	v_cmp_gt_i32_e64 s3, 32, v10
	v_dual_mov_b32 v14, 0 :: v_dual_and_b32 v15, 31, v0
	v_mul_lo_u32 v0, s14, v13
	s_mov_b32 s15, 0
	s_wait_alu 0xf1ff
	v_cndmask_b32_e64 v10, v9, v10, s3
	v_cmp_gt_i32_e64 s3, 32, v11
	v_mul_lo_u32 v23, s14, v15
	s_wait_kmcnt 0x0
	s_add_nc_u64 s[22:23], s[4:5], s[20:21]
	s_add_nc_u64 s[24:25], s[6:7], s[20:21]
	s_load_b32 s26, s[22:23], 0x0
	s_clause 0x1
	s_load_b64 s[4:5], s[0:1], 0x68
	s_load_b64 s[16:17], s[0:1], 0x50
	s_add_nc_u64 s[22:23], s[22:23], 4
	v_cndmask_b32_e64 v11, v9, v11, s3
	v_cmp_gt_i32_e64 s3, 32, v12
	v_cmp_gt_u32_e64 s0, s14, v15
	v_cmp_eq_u32_e64 s1, 31, v15
	s_delay_alu instid0(VALU_DEP_4)
	v_dual_mov_b32 v16, v14 :: v_dual_lshlrev_b32 v25, 2, v11
	s_wait_alu 0xf1ff
	v_cndmask_b32_e64 v12, v9, v12, s3
	v_cmp_gt_i32_e64 s3, 32, v17
	v_lshlrev_b32_e32 v24, 2, v10
	s_mul_i32 s13, s18, s14
	s_mul_u64 s[18:19], s[14:15], s[14:15]
	v_lshlrev_b32_e32 v26, 2, v12
	v_cndmask_b32_e64 v17, v9, v17, s3
	v_cmp_gt_i32_e64 s3, 32, v18
	s_wait_kmcnt 0x0
	s_sub_co_i32 s20, s26, s12
	s_cmp_eq_u64 s[6:7], 0
	s_wait_alu 0xf1ff
	v_cndmask_b32_e64 v9, v9, v18, s3
	s_cselect_b32 s7, s23, s25
	s_cselect_b32 s6, s22, s24
	v_lshlrev_b32_e32 v27, 2, v17
	s_load_b32 s6, s[6:7], 0x0
	v_lshlrev_b32_e32 v28, 2, v9
	s_wait_kmcnt 0x0
	s_sub_co_i32 s22, s6, s12
	s_cmp_lt_i32 s26, s6
	s_cselect_b32 s23, -1, 0
	s_cmp_lg_u32 s27, 0
	s_cselect_b32 s24, -1, 0
	s_ashr_i32 s21, s20, 31
	s_and_b32 s25, vcc_lo, s2
	s_mul_u64 s[2:3], s[20:21], s[18:19]
	s_lshl_b32 s21, s14, 5
	s_branch .LBB11_9
.LBB11_8:                               ;   in Loop: Header=BB11_9 Depth=1
	s_wait_alu 0xfffe
	s_or_b32 exec_lo, exec_lo, s6
	v_add_nc_u32_e32 v13, 32, v13
	v_add_nc_u32_e32 v0, s21, v0
	s_delay_alu instid0(VALU_DEP_2)
	v_cmp_le_i32_e32 vcc_lo, s14, v13
	s_or_b32 s15, vcc_lo, s15
	s_wait_alu 0xfffe
	s_and_not1_b32 exec_lo, exec_lo, s15
	s_cbranch_execz .LBB11_25
.LBB11_9:                               ; =>This Loop Header: Depth=1
                                        ;     Child Loop BB11_13 Depth 2
                                        ;       Child Loop BB11_16 Depth 3
	v_mov_b32_e32 v9, 0
	v_dual_mov_b32 v10, 0 :: v_dual_mov_b32 v11, 0
	v_mov_b32_e32 v12, 0
	s_and_not1_b32 vcc_lo, exec_lo, s23
	s_wait_alu 0xfffe
	s_cbranch_vccnz .LBB11_20
; %bb.10:                               ;   in Loop: Header=BB11_9 Depth=1
	s_wait_dscnt 0x3
	v_ashrrev_i32_e32 v17, 31, v0
	v_mov_b32_e32 v9, 0
	v_add_co_u32 v29, vcc_lo, s2, v0
	v_dual_mov_b32 v10, 0 :: v_dual_mov_b32 v11, 0
	v_mov_b32_e32 v12, 0
	s_wait_alu 0xfffd
	v_add_co_ci_u32_e64 v30, null, s3, v17, vcc_lo
	s_mov_b32 s6, s20
	s_branch .LBB11_13
.LBB11_11:                              ;   in Loop: Header=BB11_13 Depth=2
	s_or_b32 exec_lo, exec_lo, s7
.LBB11_12:                              ;   in Loop: Header=BB11_13 Depth=2
	s_wait_alu 0xfffe
	s_or_b32 exec_lo, exec_lo, s26
	v_add_co_u32 v29, vcc_lo, v29, s18
	s_wait_alu 0xfffd
	v_add_co_ci_u32_e64 v30, null, s19, v30, vcc_lo
	s_add_co_i32 s6, s6, 1
	s_wait_alu 0xfffe
	s_cmp_ge_i32 s6, s22
	s_cbranch_scc1 .LBB11_20
.LBB11_13:                              ;   Parent Loop BB11_9 Depth=1
                                        ; =>  This Loop Header: Depth=2
                                        ;       Child Loop BB11_16 Depth 3
	s_and_saveexec_b32 s26, s0
	s_cbranch_execz .LBB11_12
; %bb.14:                               ;   in Loop: Header=BB11_13 Depth=2
	s_wait_alu 0xfffe
	s_ashr_i32 s7, s6, 31
	s_wait_dscnt 0x2
	v_mad_co_u64_u32 v[17:18], null, s18, s6, v[13:14]
	s_wait_alu 0xfffe
	s_lshl_b64 s[28:29], s[6:7], 2
	s_mul_i32 s7, s18, s7
	s_wait_alu 0xfffe
	s_add_nc_u64 s[28:29], s[8:9], s[28:29]
	s_wait_dscnt 0x0
	v_dual_mov_b32 v31, v23 :: v_dual_mov_b32 v20, v16
	s_load_b32 s27, s[28:29], 0x0
	s_mul_i32 s28, s19, s6
	v_mov_b32_e32 v19, v15
	s_wait_alu 0xfffe
	v_add3_u32 v18, s7, s28, v18
	s_wait_kmcnt 0x0
	s_sub_co_i32 s7, s27, s12
	s_wait_alu 0xfffe
	s_mul_i32 s27, s7, s14
	s_mov_b32 s7, 0
	s_branch .LBB11_16
.LBB11_15:                              ;   in Loop: Header=BB11_16 Depth=3
	v_add_nc_u32_e32 v32, s27, v19
	s_delay_alu instid0(VALU_DEP_2) | instskip(SKIP_1) | instid1(VALU_DEP_3)
	v_lshlrev_b64_e32 v[21:22], 4, v[21:22]
	v_add_nc_u32_e32 v31, s21, v31
	v_ashrrev_i32_e32 v33, 31, v32
	s_delay_alu instid0(VALU_DEP_3) | instskip(SKIP_1) | instid1(VALU_DEP_4)
	v_add_co_u32 v21, vcc_lo, s10, v21
	s_wait_alu 0xfffd
	v_add_co_ci_u32_e64 v22, null, s11, v22, vcc_lo
	s_delay_alu instid0(VALU_DEP_3) | instskip(NEXT) | instid1(VALU_DEP_1)
	v_lshlrev_b64_e32 v[32:33], 4, v[32:33]
	v_add_co_u32 v36, vcc_lo, s16, v32
	s_wait_alu 0xfffd
	s_delay_alu instid0(VALU_DEP_2)
	v_add_co_ci_u32_e64 v37, null, s17, v33, vcc_lo
	v_add_co_u32 v19, vcc_lo, v19, 32
	global_load_b128 v[32:35], v[21:22], off
	global_load_b128 v[36:39], v[36:37], off
	s_wait_alu 0xfffd
	v_add_co_ci_u32_e64 v20, null, 0, v20, vcc_lo
	v_cmp_le_i32_e32 vcc_lo, s14, v19
	s_or_b32 s7, vcc_lo, s7
	s_wait_loadcnt 0x0
	v_fma_f64 v[11:12], v[32:33], v[36:37], v[11:12]
	v_fma_f64 v[9:10], v[34:35], v[36:37], v[9:10]
	s_delay_alu instid0(VALU_DEP_2) | instskip(NEXT) | instid1(VALU_DEP_2)
	v_fma_f64 v[11:12], -v[34:35], v[38:39], v[11:12]
	v_fma_f64 v[9:10], v[32:33], v[38:39], v[9:10]
	s_wait_alu 0xfffe
	s_and_not1_b32 exec_lo, exec_lo, s7
	s_cbranch_execz .LBB11_11
.LBB11_16:                              ;   Parent Loop BB11_9 Depth=1
                                        ;     Parent Loop BB11_13 Depth=2
                                        ; =>    This Inner Loop Header: Depth=3
	s_and_b32 vcc_lo, exec_lo, s24
	s_wait_alu 0xfffe
	s_cbranch_vccz .LBB11_18
; %bb.17:                               ;   in Loop: Header=BB11_16 Depth=3
	v_ashrrev_i32_e32 v22, 31, v31
	v_add_co_u32 v21, vcc_lo, v17, v31
	s_wait_alu 0xfffd
	s_delay_alu instid0(VALU_DEP_2)
	v_add_co_ci_u32_e64 v22, null, v18, v22, vcc_lo
	s_cbranch_execnz .LBB11_15
	s_branch .LBB11_19
.LBB11_18:                              ;   in Loop: Header=BB11_16 Depth=3
                                        ; implicit-def: $vgpr21_vgpr22
.LBB11_19:                              ;   in Loop: Header=BB11_16 Depth=3
	v_add_co_u32 v21, vcc_lo, v29, v19
	s_wait_alu 0xfffd
	v_add_co_ci_u32_e64 v22, null, v30, v20, vcc_lo
	s_branch .LBB11_15
.LBB11_20:                              ;   in Loop: Header=BB11_9 Depth=1
	s_wait_dscnt 0x3
	ds_bpermute_b32 v17, v24, v11
	s_wait_dscnt 0x3
	ds_bpermute_b32 v18, v24, v12
	;; [unrolled: 2-line block ×4, first 2 shown]
	s_wait_dscnt 0x2
	v_add_f64_e32 v[11:12], v[11:12], v[17:18]
	s_wait_dscnt 0x0
	v_add_f64_e32 v[9:10], v[9:10], v[19:20]
	ds_bpermute_b32 v17, v25, v11
	ds_bpermute_b32 v18, v25, v12
	ds_bpermute_b32 v19, v25, v9
	ds_bpermute_b32 v20, v25, v10
	s_wait_dscnt 0x2
	v_add_f64_e32 v[11:12], v[11:12], v[17:18]
	s_wait_dscnt 0x0
	v_add_f64_e32 v[9:10], v[9:10], v[19:20]
	ds_bpermute_b32 v17, v26, v11
	ds_bpermute_b32 v18, v26, v12
	ds_bpermute_b32 v19, v26, v9
	ds_bpermute_b32 v20, v26, v10
	;; [unrolled: 8-line block ×4, first 2 shown]
	s_and_saveexec_b32 s6, s1
	s_cbranch_execz .LBB11_8
; %bb.21:                               ;   in Loop: Header=BB11_9 Depth=1
	s_wait_dscnt 0x0
	v_add_f64_e32 v[11:12], v[11:12], v[19:20]
	v_add_f64_e32 v[17:18], v[9:10], v[17:18]
	s_delay_alu instid0(VALU_DEP_2) | instskip(SKIP_1) | instid1(VALU_DEP_2)
	v_mul_f64_e64 v[9:10], v[11:12], -v[3:4]
	v_mul_f64_e32 v[11:12], v[1:2], v[11:12]
	v_fma_f64 v[9:10], v[1:2], v[17:18], v[9:10]
	s_delay_alu instid0(VALU_DEP_2) | instskip(SKIP_1) | instid1(VALU_DEP_1)
	v_fma_f64 v[11:12], v[3:4], v[17:18], v[11:12]
	v_add_nc_u32_e32 v17, s13, v13
	v_ashrrev_i32_e32 v18, 31, v17
	s_and_saveexec_b32 s7, s25
	s_wait_alu 0xfffe
	s_xor_b32 s7, exec_lo, s7
	s_cbranch_execz .LBB11_23
; %bb.22:                               ;   in Loop: Header=BB11_9 Depth=1
	v_lshlrev_b64_e32 v[17:18], 4, v[17:18]
	s_delay_alu instid0(VALU_DEP_1) | instskip(SKIP_1) | instid1(VALU_DEP_2)
	v_add_co_u32 v17, vcc_lo, s4, v17
	s_wait_alu 0xfffd
	v_add_co_ci_u32_e64 v18, null, s5, v18, vcc_lo
	global_store_b128 v[17:18], v[9:12], off
                                        ; implicit-def: $vgpr17
                                        ; implicit-def: $vgpr9_vgpr10
.LBB11_23:                              ;   in Loop: Header=BB11_9 Depth=1
	s_wait_alu 0xfffe
	s_and_not1_saveexec_b32 s7, s7
	s_cbranch_execz .LBB11_8
; %bb.24:                               ;   in Loop: Header=BB11_9 Depth=1
	v_lshlrev_b64_e32 v[17:18], 4, v[17:18]
	s_delay_alu instid0(VALU_DEP_1) | instskip(SKIP_1) | instid1(VALU_DEP_2)
	v_add_co_u32 v21, vcc_lo, s4, v17
	s_wait_alu 0xfffd
	v_add_co_ci_u32_e64 v22, null, s5, v18, vcc_lo
	global_load_b128 v[17:20], v[21:22], off
	s_wait_loadcnt 0x0
	v_fma_f64 v[9:10], v[5:6], v[17:18], v[9:10]
	v_fma_f64 v[11:12], v[7:8], v[17:18], v[11:12]
	s_delay_alu instid0(VALU_DEP_2) | instskip(NEXT) | instid1(VALU_DEP_2)
	v_fma_f64 v[9:10], -v[7:8], v[19:20], v[9:10]
	v_fma_f64 v[11:12], v[5:6], v[19:20], v[11:12]
	global_store_b128 v[21:22], v[9:12], off
	s_branch .LBB11_8
.LBB11_25:
	s_endpgm
	.section	.rodata,"a",@progbits
	.p2align	6, 0x0
	.amdhsa_kernel _ZN9rocsparseL22bsrxmvn_general_kernelILj1024ELj32E21rocsparse_complex_numIdEiiS2_S2_S2_EEv20rocsparse_direction_NS_24const_host_device_scalarIT1_EET3_PKS7_PKT2_SC_S9_PKT4_S7_PKT5_S6_PT6_21rocsparse_index_base_b
		.amdhsa_group_segment_fixed_size 0
		.amdhsa_private_segment_fixed_size 0
		.amdhsa_kernarg_size 120
		.amdhsa_user_sgpr_count 2
		.amdhsa_user_sgpr_dispatch_ptr 0
		.amdhsa_user_sgpr_queue_ptr 0
		.amdhsa_user_sgpr_kernarg_segment_ptr 1
		.amdhsa_user_sgpr_dispatch_id 0
		.amdhsa_user_sgpr_private_segment_size 0
		.amdhsa_wavefront_size32 1
		.amdhsa_uses_dynamic_stack 0
		.amdhsa_enable_private_segment 0
		.amdhsa_system_sgpr_workgroup_id_x 1
		.amdhsa_system_sgpr_workgroup_id_y 0
		.amdhsa_system_sgpr_workgroup_id_z 0
		.amdhsa_system_sgpr_workgroup_info 0
		.amdhsa_system_vgpr_workitem_id 0
		.amdhsa_next_free_vgpr 40
		.amdhsa_next_free_sgpr 30
		.amdhsa_reserve_vcc 1
		.amdhsa_float_round_mode_32 0
		.amdhsa_float_round_mode_16_64 0
		.amdhsa_float_denorm_mode_32 3
		.amdhsa_float_denorm_mode_16_64 3
		.amdhsa_fp16_overflow 0
		.amdhsa_workgroup_processor_mode 1
		.amdhsa_memory_ordered 1
		.amdhsa_forward_progress 1
		.amdhsa_inst_pref_size 13
		.amdhsa_round_robin_scheduling 0
		.amdhsa_exception_fp_ieee_invalid_op 0
		.amdhsa_exception_fp_denorm_src 0
		.amdhsa_exception_fp_ieee_div_zero 0
		.amdhsa_exception_fp_ieee_overflow 0
		.amdhsa_exception_fp_ieee_underflow 0
		.amdhsa_exception_fp_ieee_inexact 0
		.amdhsa_exception_int_div_zero 0
	.end_amdhsa_kernel
	.section	.text._ZN9rocsparseL22bsrxmvn_general_kernelILj1024ELj32E21rocsparse_complex_numIdEiiS2_S2_S2_EEv20rocsparse_direction_NS_24const_host_device_scalarIT1_EET3_PKS7_PKT2_SC_S9_PKT4_S7_PKT5_S6_PT6_21rocsparse_index_base_b,"axG",@progbits,_ZN9rocsparseL22bsrxmvn_general_kernelILj1024ELj32E21rocsparse_complex_numIdEiiS2_S2_S2_EEv20rocsparse_direction_NS_24const_host_device_scalarIT1_EET3_PKS7_PKT2_SC_S9_PKT4_S7_PKT5_S6_PT6_21rocsparse_index_base_b,comdat
.Lfunc_end11:
	.size	_ZN9rocsparseL22bsrxmvn_general_kernelILj1024ELj32E21rocsparse_complex_numIdEiiS2_S2_S2_EEv20rocsparse_direction_NS_24const_host_device_scalarIT1_EET3_PKS7_PKT2_SC_S9_PKT4_S7_PKT5_S6_PT6_21rocsparse_index_base_b, .Lfunc_end11-_ZN9rocsparseL22bsrxmvn_general_kernelILj1024ELj32E21rocsparse_complex_numIdEiiS2_S2_S2_EEv20rocsparse_direction_NS_24const_host_device_scalarIT1_EET3_PKS7_PKT2_SC_S9_PKT4_S7_PKT5_S6_PT6_21rocsparse_index_base_b
                                        ; -- End function
	.set _ZN9rocsparseL22bsrxmvn_general_kernelILj1024ELj32E21rocsparse_complex_numIdEiiS2_S2_S2_EEv20rocsparse_direction_NS_24const_host_device_scalarIT1_EET3_PKS7_PKT2_SC_S9_PKT4_S7_PKT5_S6_PT6_21rocsparse_index_base_b.num_vgpr, 40
	.set _ZN9rocsparseL22bsrxmvn_general_kernelILj1024ELj32E21rocsparse_complex_numIdEiiS2_S2_S2_EEv20rocsparse_direction_NS_24const_host_device_scalarIT1_EET3_PKS7_PKT2_SC_S9_PKT4_S7_PKT5_S6_PT6_21rocsparse_index_base_b.num_agpr, 0
	.set _ZN9rocsparseL22bsrxmvn_general_kernelILj1024ELj32E21rocsparse_complex_numIdEiiS2_S2_S2_EEv20rocsparse_direction_NS_24const_host_device_scalarIT1_EET3_PKS7_PKT2_SC_S9_PKT4_S7_PKT5_S6_PT6_21rocsparse_index_base_b.numbered_sgpr, 30
	.set _ZN9rocsparseL22bsrxmvn_general_kernelILj1024ELj32E21rocsparse_complex_numIdEiiS2_S2_S2_EEv20rocsparse_direction_NS_24const_host_device_scalarIT1_EET3_PKS7_PKT2_SC_S9_PKT4_S7_PKT5_S6_PT6_21rocsparse_index_base_b.num_named_barrier, 0
	.set _ZN9rocsparseL22bsrxmvn_general_kernelILj1024ELj32E21rocsparse_complex_numIdEiiS2_S2_S2_EEv20rocsparse_direction_NS_24const_host_device_scalarIT1_EET3_PKS7_PKT2_SC_S9_PKT4_S7_PKT5_S6_PT6_21rocsparse_index_base_b.private_seg_size, 0
	.set _ZN9rocsparseL22bsrxmvn_general_kernelILj1024ELj32E21rocsparse_complex_numIdEiiS2_S2_S2_EEv20rocsparse_direction_NS_24const_host_device_scalarIT1_EET3_PKS7_PKT2_SC_S9_PKT4_S7_PKT5_S6_PT6_21rocsparse_index_base_b.uses_vcc, 1
	.set _ZN9rocsparseL22bsrxmvn_general_kernelILj1024ELj32E21rocsparse_complex_numIdEiiS2_S2_S2_EEv20rocsparse_direction_NS_24const_host_device_scalarIT1_EET3_PKS7_PKT2_SC_S9_PKT4_S7_PKT5_S6_PT6_21rocsparse_index_base_b.uses_flat_scratch, 0
	.set _ZN9rocsparseL22bsrxmvn_general_kernelILj1024ELj32E21rocsparse_complex_numIdEiiS2_S2_S2_EEv20rocsparse_direction_NS_24const_host_device_scalarIT1_EET3_PKS7_PKT2_SC_S9_PKT4_S7_PKT5_S6_PT6_21rocsparse_index_base_b.has_dyn_sized_stack, 0
	.set _ZN9rocsparseL22bsrxmvn_general_kernelILj1024ELj32E21rocsparse_complex_numIdEiiS2_S2_S2_EEv20rocsparse_direction_NS_24const_host_device_scalarIT1_EET3_PKS7_PKT2_SC_S9_PKT4_S7_PKT5_S6_PT6_21rocsparse_index_base_b.has_recursion, 0
	.set _ZN9rocsparseL22bsrxmvn_general_kernelILj1024ELj32E21rocsparse_complex_numIdEiiS2_S2_S2_EEv20rocsparse_direction_NS_24const_host_device_scalarIT1_EET3_PKS7_PKT2_SC_S9_PKT4_S7_PKT5_S6_PT6_21rocsparse_index_base_b.has_indirect_call, 0
	.section	.AMDGPU.csdata,"",@progbits
; Kernel info:
; codeLenInByte = 1652
; TotalNumSgprs: 32
; NumVgprs: 40
; ScratchSize: 0
; MemoryBound: 0
; FloatMode: 240
; IeeeMode: 1
; LDSByteSize: 0 bytes/workgroup (compile time only)
; SGPRBlocks: 0
; VGPRBlocks: 4
; NumSGPRsForWavesPerEU: 32
; NumVGPRsForWavesPerEU: 40
; Occupancy: 16
; WaveLimiterHint : 1
; COMPUTE_PGM_RSRC2:SCRATCH_EN: 0
; COMPUTE_PGM_RSRC2:USER_SGPR: 2
; COMPUTE_PGM_RSRC2:TRAP_HANDLER: 0
; COMPUTE_PGM_RSRC2:TGID_X_EN: 1
; COMPUTE_PGM_RSRC2:TGID_Y_EN: 0
; COMPUTE_PGM_RSRC2:TGID_Z_EN: 0
; COMPUTE_PGM_RSRC2:TIDIG_COMP_CNT: 0
	.section	.text._ZN9rocsparseL22bsrxmvn_general_kernelILj64ELj8EflifffEEv20rocsparse_direction_NS_24const_host_device_scalarIT1_EET3_PKS5_PKT2_SA_S7_PKT4_S5_PKT5_S4_PT6_21rocsparse_index_base_b,"axG",@progbits,_ZN9rocsparseL22bsrxmvn_general_kernelILj64ELj8EflifffEEv20rocsparse_direction_NS_24const_host_device_scalarIT1_EET3_PKS5_PKT2_SA_S7_PKT4_S5_PKT5_S4_PT6_21rocsparse_index_base_b,comdat
	.globl	_ZN9rocsparseL22bsrxmvn_general_kernelILj64ELj8EflifffEEv20rocsparse_direction_NS_24const_host_device_scalarIT1_EET3_PKS5_PKT2_SA_S7_PKT4_S5_PKT5_S4_PT6_21rocsparse_index_base_b ; -- Begin function _ZN9rocsparseL22bsrxmvn_general_kernelILj64ELj8EflifffEEv20rocsparse_direction_NS_24const_host_device_scalarIT1_EET3_PKS5_PKT2_SA_S7_PKT4_S5_PKT5_S4_PT6_21rocsparse_index_base_b
	.p2align	8
	.type	_ZN9rocsparseL22bsrxmvn_general_kernelILj64ELj8EflifffEEv20rocsparse_direction_NS_24const_host_device_scalarIT1_EET3_PKS5_PKT2_SA_S7_PKT4_S5_PKT5_S4_PT6_21rocsparse_index_base_b,@function
_ZN9rocsparseL22bsrxmvn_general_kernelILj64ELj8EflifffEEv20rocsparse_direction_NS_24const_host_device_scalarIT1_EET3_PKS5_PKT2_SA_S7_PKT4_S5_PKT5_S4_PT6_21rocsparse_index_base_b: ; @_ZN9rocsparseL22bsrxmvn_general_kernelILj64ELj8EflifffEEv20rocsparse_direction_NS_24const_host_device_scalarIT1_EET3_PKS5_PKT2_SA_S7_PKT4_S5_PKT5_S4_PT6_21rocsparse_index_base_b
; %bb.0:
	s_clause 0x2
	s_load_b64 s[2:3], s[0:1], 0x60
	s_load_b64 s[12:13], s[0:1], 0x8
	;; [unrolled: 1-line block ×3, first 2 shown]
	s_wait_kmcnt 0x0
	s_bitcmp1_b32 s3, 0
	s_cselect_b32 s3, -1, 0
	s_delay_alu instid0(SALU_CYCLE_1)
	s_and_b32 vcc_lo, exec_lo, s3
	s_xor_b32 s3, s3, -1
	s_cbranch_vccnz .LBB12_2
; %bb.1:
	s_load_b32 s12, s[12:13], 0x0
.LBB12_2:
	s_and_not1_b32 vcc_lo, exec_lo, s3
	s_cbranch_vccnz .LBB12_4
; %bb.3:
	s_load_b32 s14, s[14:15], 0x0
.LBB12_4:
	s_wait_kmcnt 0x0
	s_cmp_neq_f32 s12, 0
	s_cselect_b32 s3, -1, 0
	s_cmp_neq_f32 s14, 1.0
	s_cselect_b32 s4, -1, 0
	s_delay_alu instid0(SALU_CYCLE_1) | instskip(NEXT) | instid1(SALU_CYCLE_1)
	s_or_b32 s3, s3, s4
	s_and_not1_b32 vcc_lo, exec_lo, s3
	s_cbranch_vccnz .LBB12_27
; %bb.5:
	s_load_b64 s[4:5], s[0:1], 0x18
	s_wait_kmcnt 0x0
	s_cmp_eq_u64 s[4:5], 0
	s_cbranch_scc1 .LBB12_7
; %bb.6:
	s_mov_b32 s6, ttmp9
	s_ashr_i32 s7, ttmp9, 31
	s_delay_alu instid0(SALU_CYCLE_1) | instskip(NEXT) | instid1(SALU_CYCLE_1)
	s_lshl_b64 s[6:7], s[6:7], 2
	s_add_nc_u64 s[4:5], s[4:5], s[6:7]
	s_load_b32 s3, s[4:5], 0x0
	s_wait_kmcnt 0x0
	s_sub_co_i32 s24, s3, s2
	s_branch .LBB12_8
.LBB12_7:
	s_mov_b32 s24, ttmp9
.LBB12_8:
	s_load_b32 s16, s[0:1], 0x40
	v_lshrrev_b32_e32 v1, 3, v0
	s_mov_b32 s3, exec_lo
	s_wait_kmcnt 0x0
	s_delay_alu instid0(VALU_DEP_1)
	v_cmpx_gt_i32_e64 s16, v1
	s_cbranch_execz .LBB12_27
; %bb.9:
	s_clause 0x2
	s_load_b256 s[4:11], s[0:1], 0x20
	s_load_b64 s[18:19], s[0:1], 0x58
	s_load_b64 s[20:21], s[0:1], 0x48
	s_ashr_i32 s25, s24, 31
	v_mbcnt_lo_u32_b32 v2, -1, 0
	s_load_b32 s13, s[0:1], 0x0
	s_lshl_b64 s[0:1], s[24:25], 3
	v_dual_mov_b32 v4, 0 :: v_dual_and_b32 v3, 7, v0
	s_delay_alu instid0(VALU_DEP_2)
	v_xor_b32_e32 v5, 4, v2
	v_xor_b32_e32 v6, 2, v2
	;; [unrolled: 1-line block ×3, first 2 shown]
	s_mov_b32 s3, 0
	v_mul_lo_u32 v0, s16, v1
	v_cmp_gt_i32_e32 vcc_lo, 32, v5
	s_mov_b32 s17, s3
	v_mul_lo_u32 v11, s16, v3
	s_wait_alu 0xfffe
	s_mul_u64 s[22:23], s[16:17], s[16:17]
	v_cndmask_b32_e32 v5, v2, v5, vcc_lo
	s_wait_kmcnt 0x0
	s_add_nc_u64 s[4:5], s[4:5], s[0:1]
	s_add_nc_u64 s[26:27], s[6:7], s[0:1]
	s_cmp_eq_u64 s[6:7], 0
	s_add_nc_u64 s[6:7], s[4:5], 8
	v_cmp_gt_i32_e32 vcc_lo, 32, v6
	s_cselect_b32 s7, s7, s27
	s_cselect_b32 s6, s6, s26
	s_load_b64 s[26:27], s[4:5], 0x0
	s_load_b64 s[28:29], s[6:7], 0x0
	s_cmp_lg_u32 s13, 0
	v_cndmask_b32_e32 v6, v2, v6, vcc_lo
	v_cmp_gt_i32_e32 vcc_lo, 32, v7
	s_cselect_b32 s13, -1, 0
	s_cmp_eq_f32 s14, 0
	v_cmp_gt_u32_e64 s0, s16, v3
	v_cmp_eq_u32_e64 s1, 7, v3
	s_wait_alu 0xfffd
	v_dual_cndmask_b32 v2, v2, v7 :: v_dual_lshlrev_b32 v13, 2, v6
	s_cselect_b32 s15, -1, 0
	s_delay_alu instid0(VALU_DEP_1)
	v_lshlrev_b32_e32 v14, 2, v2
	v_lshlrev_b32_e32 v12, 2, v5
	s_wait_kmcnt 0x0
	s_sub_nc_u64 s[4:5], s[26:27], s[2:3]
	v_cmp_lt_i64_e64 s17, s[26:27], s[28:29]
	s_sub_nc_u64 s[6:7], s[28:29], s[2:3]
	s_mul_i32 s28, s24, s16
	s_mul_u64 s[24:25], s[4:5], s[22:23]
	s_lshl_b32 s29, s16, 3
	s_branch .LBB12_11
.LBB12_10:                              ;   in Loop: Header=BB12_11 Depth=1
	s_wait_alu 0xfffe
	s_or_b32 exec_lo, exec_lo, s26
	v_add_nc_u32_e32 v1, 8, v1
	v_add_nc_u32_e32 v0, s29, v0
	s_delay_alu instid0(VALU_DEP_2) | instskip(SKIP_1) | instid1(SALU_CYCLE_1)
	v_cmp_le_i32_e32 vcc_lo, s16, v1
	s_or_b32 s3, vcc_lo, s3
	s_and_not1_b32 exec_lo, exec_lo, s3
	s_cbranch_execz .LBB12_27
.LBB12_11:                              ; =>This Loop Header: Depth=1
                                        ;     Child Loop BB12_15 Depth 2
                                        ;       Child Loop BB12_18 Depth 3
	v_mov_b32_e32 v15, 0
	s_and_not1_b32 vcc_lo, exec_lo, s17
	s_wait_alu 0xfffe
	s_cbranch_vccnz .LBB12_22
; %bb.12:                               ;   in Loop: Header=BB12_11 Depth=1
	s_wait_dscnt 0x0
	v_ashrrev_i32_e32 v5, 31, v0
	v_add_co_u32 v16, vcc_lo, s24, v0
	v_ashrrev_i32_e32 v2, 31, v1
	v_mov_b32_e32 v15, 0
	s_wait_alu 0xfffd
	v_add_co_ci_u32_e64 v17, null, s25, v5, vcc_lo
	s_mov_b64 s[26:27], s[4:5]
	s_branch .LBB12_15
.LBB12_13:                              ;   in Loop: Header=BB12_15 Depth=2
	s_or_b32 exec_lo, exec_lo, s31
.LBB12_14:                              ;   in Loop: Header=BB12_15 Depth=2
	s_delay_alu instid0(SALU_CYCLE_1)
	s_or_b32 exec_lo, exec_lo, s30
	s_wait_alu 0xfffe
	s_add_nc_u64 s[26:27], s[26:27], 1
	v_add_co_u32 v16, vcc_lo, v16, s22
	s_wait_alu 0xfffe
	v_cmp_ge_i64_e64 s30, s[26:27], s[6:7]
	s_wait_alu 0xfffd
	v_add_co_ci_u32_e64 v17, null, s23, v17, vcc_lo
	s_and_b32 vcc_lo, exec_lo, s30
	s_wait_alu 0xfffe
	s_cbranch_vccnz .LBB12_22
.LBB12_15:                              ;   Parent Loop BB12_11 Depth=1
                                        ; =>  This Loop Header: Depth=2
                                        ;       Child Loop BB12_18 Depth 3
	s_and_saveexec_b32 s30, s0
	s_cbranch_execz .LBB12_14
; %bb.16:                               ;   in Loop: Header=BB12_15 Depth=2
	s_wait_alu 0xfffe
	s_lshl_b64 s[34:35], s[26:27], 2
	v_mad_co_u64_u32 v[5:6], null, s22, s26, v[1:2]
	s_wait_alu 0xfffe
	s_add_nc_u64 s[34:35], s[8:9], s[34:35]
	s_mul_i32 s33, s23, s26
	s_load_b32 s31, s[34:35], 0x0
	s_mul_i32 s34, s22, s27
	v_mov_b32_e32 v8, v4
	v_dual_mov_b32 v18, v11 :: v_dual_mov_b32 v7, v3
	s_wait_alu 0xfffe
	v_add3_u32 v6, s34, s33, v6
	s_wait_kmcnt 0x0
	s_sub_co_i32 s31, s31, s2
	s_delay_alu instid0(SALU_CYCLE_1)
	s_mul_i32 s33, s31, s16
	s_mov_b32 s31, 0
	s_branch .LBB12_18
.LBB12_17:                              ;   in Loop: Header=BB12_18 Depth=3
	v_add_nc_u32_e32 v19, s33, v7
	s_delay_alu instid0(VALU_DEP_2) | instskip(SKIP_1) | instid1(VALU_DEP_3)
	v_lshlrev_b64_e32 v[9:10], 2, v[9:10]
	v_add_nc_u32_e32 v18, s29, v18
	v_ashrrev_i32_e32 v20, 31, v19
	s_delay_alu instid0(VALU_DEP_3) | instskip(SKIP_1) | instid1(VALU_DEP_4)
	v_add_co_u32 v9, vcc_lo, s10, v9
	s_wait_alu 0xfffd
	v_add_co_ci_u32_e64 v10, null, s11, v10, vcc_lo
	s_delay_alu instid0(VALU_DEP_3) | instskip(NEXT) | instid1(VALU_DEP_1)
	v_lshlrev_b64_e32 v[19:20], 2, v[19:20]
	v_add_co_u32 v19, vcc_lo, s20, v19
	s_wait_alu 0xfffd
	s_delay_alu instid0(VALU_DEP_2)
	v_add_co_ci_u32_e64 v20, null, s21, v20, vcc_lo
	v_add_co_u32 v7, vcc_lo, v7, 8
	global_load_b32 v9, v[9:10], off
	global_load_b32 v10, v[19:20], off
	s_wait_alu 0xfffd
	v_add_co_ci_u32_e64 v8, null, 0, v8, vcc_lo
	v_cmp_le_i32_e32 vcc_lo, s16, v7
	s_or_b32 s31, vcc_lo, s31
	s_wait_loadcnt 0x0
	v_fmac_f32_e32 v15, v9, v10
	s_and_not1_b32 exec_lo, exec_lo, s31
	s_cbranch_execz .LBB12_13
.LBB12_18:                              ;   Parent Loop BB12_11 Depth=1
                                        ;     Parent Loop BB12_15 Depth=2
                                        ; =>    This Inner Loop Header: Depth=3
	s_and_b32 vcc_lo, exec_lo, s13
	s_wait_alu 0xfffe
	s_cbranch_vccz .LBB12_20
; %bb.19:                               ;   in Loop: Header=BB12_18 Depth=3
	v_ashrrev_i32_e32 v10, 31, v18
	v_add_co_u32 v9, vcc_lo, v5, v18
	s_wait_alu 0xfffd
	s_delay_alu instid0(VALU_DEP_2)
	v_add_co_ci_u32_e64 v10, null, v6, v10, vcc_lo
	s_cbranch_execnz .LBB12_17
	s_branch .LBB12_21
.LBB12_20:                              ;   in Loop: Header=BB12_18 Depth=3
                                        ; implicit-def: $vgpr9_vgpr10
.LBB12_21:                              ;   in Loop: Header=BB12_18 Depth=3
	v_add_co_u32 v9, vcc_lo, v16, v7
	s_wait_alu 0xfffd
	v_add_co_ci_u32_e64 v10, null, v17, v8, vcc_lo
	s_branch .LBB12_17
.LBB12_22:                              ;   in Loop: Header=BB12_11 Depth=1
	ds_bpermute_b32 v2, v12, v15
	s_wait_dscnt 0x0
	v_add_f32_e32 v2, v15, v2
	ds_bpermute_b32 v5, v13, v2
	s_wait_dscnt 0x0
	v_add_f32_e32 v2, v2, v5
	ds_bpermute_b32 v5, v14, v2
	s_and_saveexec_b32 s26, s1
	s_cbranch_execz .LBB12_10
; %bb.23:                               ;   in Loop: Header=BB12_11 Depth=1
	s_wait_dscnt 0x0
	v_add_f32_e32 v2, v2, v5
	v_add_nc_u32_e32 v5, s28, v1
	s_and_b32 vcc_lo, exec_lo, s15
	s_delay_alu instid0(VALU_DEP_2) | instskip(NEXT) | instid1(VALU_DEP_2)
	v_mul_f32_e32 v2, s12, v2
	v_ashrrev_i32_e32 v6, 31, v5
	s_wait_alu 0xfffe
	s_cbranch_vccz .LBB12_25
; %bb.24:                               ;   in Loop: Header=BB12_11 Depth=1
	s_delay_alu instid0(VALU_DEP_1) | instskip(NEXT) | instid1(VALU_DEP_1)
	v_lshlrev_b64_e32 v[7:8], 2, v[5:6]
	v_add_co_u32 v7, vcc_lo, s18, v7
	s_wait_alu 0xfffd
	s_delay_alu instid0(VALU_DEP_2)
	v_add_co_ci_u32_e64 v8, null, s19, v8, vcc_lo
	global_store_b32 v[7:8], v2, off
	s_cbranch_execnz .LBB12_10
	s_branch .LBB12_26
.LBB12_25:                              ;   in Loop: Header=BB12_11 Depth=1
.LBB12_26:                              ;   in Loop: Header=BB12_11 Depth=1
	s_delay_alu instid0(VALU_DEP_1) | instskip(NEXT) | instid1(VALU_DEP_1)
	v_lshlrev_b64_e32 v[5:6], 2, v[5:6]
	v_add_co_u32 v5, vcc_lo, s18, v5
	s_wait_alu 0xfffd
	s_delay_alu instid0(VALU_DEP_2)
	v_add_co_ci_u32_e64 v6, null, s19, v6, vcc_lo
	global_load_b32 v7, v[5:6], off
	s_wait_loadcnt 0x0
	v_fmac_f32_e32 v2, s14, v7
	global_store_b32 v[5:6], v2, off
	s_branch .LBB12_10
.LBB12_27:
	s_endpgm
	.section	.rodata,"a",@progbits
	.p2align	6, 0x0
	.amdhsa_kernel _ZN9rocsparseL22bsrxmvn_general_kernelILj64ELj8EflifffEEv20rocsparse_direction_NS_24const_host_device_scalarIT1_EET3_PKS5_PKT2_SA_S7_PKT4_S5_PKT5_S4_PT6_21rocsparse_index_base_b
		.amdhsa_group_segment_fixed_size 0
		.amdhsa_private_segment_fixed_size 0
		.amdhsa_kernarg_size 104
		.amdhsa_user_sgpr_count 2
		.amdhsa_user_sgpr_dispatch_ptr 0
		.amdhsa_user_sgpr_queue_ptr 0
		.amdhsa_user_sgpr_kernarg_segment_ptr 1
		.amdhsa_user_sgpr_dispatch_id 0
		.amdhsa_user_sgpr_private_segment_size 0
		.amdhsa_wavefront_size32 1
		.amdhsa_uses_dynamic_stack 0
		.amdhsa_enable_private_segment 0
		.amdhsa_system_sgpr_workgroup_id_x 1
		.amdhsa_system_sgpr_workgroup_id_y 0
		.amdhsa_system_sgpr_workgroup_id_z 0
		.amdhsa_system_sgpr_workgroup_info 0
		.amdhsa_system_vgpr_workitem_id 0
		.amdhsa_next_free_vgpr 21
		.amdhsa_next_free_sgpr 36
		.amdhsa_reserve_vcc 1
		.amdhsa_float_round_mode_32 0
		.amdhsa_float_round_mode_16_64 0
		.amdhsa_float_denorm_mode_32 3
		.amdhsa_float_denorm_mode_16_64 3
		.amdhsa_fp16_overflow 0
		.amdhsa_workgroup_processor_mode 1
		.amdhsa_memory_ordered 1
		.amdhsa_forward_progress 1
		.amdhsa_inst_pref_size 10
		.amdhsa_round_robin_scheduling 0
		.amdhsa_exception_fp_ieee_invalid_op 0
		.amdhsa_exception_fp_denorm_src 0
		.amdhsa_exception_fp_ieee_div_zero 0
		.amdhsa_exception_fp_ieee_overflow 0
		.amdhsa_exception_fp_ieee_underflow 0
		.amdhsa_exception_fp_ieee_inexact 0
		.amdhsa_exception_int_div_zero 0
	.end_amdhsa_kernel
	.section	.text._ZN9rocsparseL22bsrxmvn_general_kernelILj64ELj8EflifffEEv20rocsparse_direction_NS_24const_host_device_scalarIT1_EET3_PKS5_PKT2_SA_S7_PKT4_S5_PKT5_S4_PT6_21rocsparse_index_base_b,"axG",@progbits,_ZN9rocsparseL22bsrxmvn_general_kernelILj64ELj8EflifffEEv20rocsparse_direction_NS_24const_host_device_scalarIT1_EET3_PKS5_PKT2_SA_S7_PKT4_S5_PKT5_S4_PT6_21rocsparse_index_base_b,comdat
.Lfunc_end12:
	.size	_ZN9rocsparseL22bsrxmvn_general_kernelILj64ELj8EflifffEEv20rocsparse_direction_NS_24const_host_device_scalarIT1_EET3_PKS5_PKT2_SA_S7_PKT4_S5_PKT5_S4_PT6_21rocsparse_index_base_b, .Lfunc_end12-_ZN9rocsparseL22bsrxmvn_general_kernelILj64ELj8EflifffEEv20rocsparse_direction_NS_24const_host_device_scalarIT1_EET3_PKS5_PKT2_SA_S7_PKT4_S5_PKT5_S4_PT6_21rocsparse_index_base_b
                                        ; -- End function
	.set _ZN9rocsparseL22bsrxmvn_general_kernelILj64ELj8EflifffEEv20rocsparse_direction_NS_24const_host_device_scalarIT1_EET3_PKS5_PKT2_SA_S7_PKT4_S5_PKT5_S4_PT6_21rocsparse_index_base_b.num_vgpr, 21
	.set _ZN9rocsparseL22bsrxmvn_general_kernelILj64ELj8EflifffEEv20rocsparse_direction_NS_24const_host_device_scalarIT1_EET3_PKS5_PKT2_SA_S7_PKT4_S5_PKT5_S4_PT6_21rocsparse_index_base_b.num_agpr, 0
	.set _ZN9rocsparseL22bsrxmvn_general_kernelILj64ELj8EflifffEEv20rocsparse_direction_NS_24const_host_device_scalarIT1_EET3_PKS5_PKT2_SA_S7_PKT4_S5_PKT5_S4_PT6_21rocsparse_index_base_b.numbered_sgpr, 36
	.set _ZN9rocsparseL22bsrxmvn_general_kernelILj64ELj8EflifffEEv20rocsparse_direction_NS_24const_host_device_scalarIT1_EET3_PKS5_PKT2_SA_S7_PKT4_S5_PKT5_S4_PT6_21rocsparse_index_base_b.num_named_barrier, 0
	.set _ZN9rocsparseL22bsrxmvn_general_kernelILj64ELj8EflifffEEv20rocsparse_direction_NS_24const_host_device_scalarIT1_EET3_PKS5_PKT2_SA_S7_PKT4_S5_PKT5_S4_PT6_21rocsparse_index_base_b.private_seg_size, 0
	.set _ZN9rocsparseL22bsrxmvn_general_kernelILj64ELj8EflifffEEv20rocsparse_direction_NS_24const_host_device_scalarIT1_EET3_PKS5_PKT2_SA_S7_PKT4_S5_PKT5_S4_PT6_21rocsparse_index_base_b.uses_vcc, 1
	.set _ZN9rocsparseL22bsrxmvn_general_kernelILj64ELj8EflifffEEv20rocsparse_direction_NS_24const_host_device_scalarIT1_EET3_PKS5_PKT2_SA_S7_PKT4_S5_PKT5_S4_PT6_21rocsparse_index_base_b.uses_flat_scratch, 0
	.set _ZN9rocsparseL22bsrxmvn_general_kernelILj64ELj8EflifffEEv20rocsparse_direction_NS_24const_host_device_scalarIT1_EET3_PKS5_PKT2_SA_S7_PKT4_S5_PKT5_S4_PT6_21rocsparse_index_base_b.has_dyn_sized_stack, 0
	.set _ZN9rocsparseL22bsrxmvn_general_kernelILj64ELj8EflifffEEv20rocsparse_direction_NS_24const_host_device_scalarIT1_EET3_PKS5_PKT2_SA_S7_PKT4_S5_PKT5_S4_PT6_21rocsparse_index_base_b.has_recursion, 0
	.set _ZN9rocsparseL22bsrxmvn_general_kernelILj64ELj8EflifffEEv20rocsparse_direction_NS_24const_host_device_scalarIT1_EET3_PKS5_PKT2_SA_S7_PKT4_S5_PKT5_S4_PT6_21rocsparse_index_base_b.has_indirect_call, 0
	.section	.AMDGPU.csdata,"",@progbits
; Kernel info:
; codeLenInByte = 1160
; TotalNumSgprs: 38
; NumVgprs: 21
; ScratchSize: 0
; MemoryBound: 0
; FloatMode: 240
; IeeeMode: 1
; LDSByteSize: 0 bytes/workgroup (compile time only)
; SGPRBlocks: 0
; VGPRBlocks: 2
; NumSGPRsForWavesPerEU: 38
; NumVGPRsForWavesPerEU: 21
; Occupancy: 16
; WaveLimiterHint : 1
; COMPUTE_PGM_RSRC2:SCRATCH_EN: 0
; COMPUTE_PGM_RSRC2:USER_SGPR: 2
; COMPUTE_PGM_RSRC2:TRAP_HANDLER: 0
; COMPUTE_PGM_RSRC2:TGID_X_EN: 1
; COMPUTE_PGM_RSRC2:TGID_Y_EN: 0
; COMPUTE_PGM_RSRC2:TGID_Z_EN: 0
; COMPUTE_PGM_RSRC2:TIDIG_COMP_CNT: 0
	.section	.text._ZN9rocsparseL22bsrxmvn_general_kernelILj256ELj16EflifffEEv20rocsparse_direction_NS_24const_host_device_scalarIT1_EET3_PKS5_PKT2_SA_S7_PKT4_S5_PKT5_S4_PT6_21rocsparse_index_base_b,"axG",@progbits,_ZN9rocsparseL22bsrxmvn_general_kernelILj256ELj16EflifffEEv20rocsparse_direction_NS_24const_host_device_scalarIT1_EET3_PKS5_PKT2_SA_S7_PKT4_S5_PKT5_S4_PT6_21rocsparse_index_base_b,comdat
	.globl	_ZN9rocsparseL22bsrxmvn_general_kernelILj256ELj16EflifffEEv20rocsparse_direction_NS_24const_host_device_scalarIT1_EET3_PKS5_PKT2_SA_S7_PKT4_S5_PKT5_S4_PT6_21rocsparse_index_base_b ; -- Begin function _ZN9rocsparseL22bsrxmvn_general_kernelILj256ELj16EflifffEEv20rocsparse_direction_NS_24const_host_device_scalarIT1_EET3_PKS5_PKT2_SA_S7_PKT4_S5_PKT5_S4_PT6_21rocsparse_index_base_b
	.p2align	8
	.type	_ZN9rocsparseL22bsrxmvn_general_kernelILj256ELj16EflifffEEv20rocsparse_direction_NS_24const_host_device_scalarIT1_EET3_PKS5_PKT2_SA_S7_PKT4_S5_PKT5_S4_PT6_21rocsparse_index_base_b,@function
_ZN9rocsparseL22bsrxmvn_general_kernelILj256ELj16EflifffEEv20rocsparse_direction_NS_24const_host_device_scalarIT1_EET3_PKS5_PKT2_SA_S7_PKT4_S5_PKT5_S4_PT6_21rocsparse_index_base_b: ; @_ZN9rocsparseL22bsrxmvn_general_kernelILj256ELj16EflifffEEv20rocsparse_direction_NS_24const_host_device_scalarIT1_EET3_PKS5_PKT2_SA_S7_PKT4_S5_PKT5_S4_PT6_21rocsparse_index_base_b
; %bb.0:
	s_clause 0x2
	s_load_b64 s[2:3], s[0:1], 0x60
	s_load_b64 s[12:13], s[0:1], 0x8
	;; [unrolled: 1-line block ×3, first 2 shown]
	s_wait_kmcnt 0x0
	s_bitcmp1_b32 s3, 0
	s_cselect_b32 s3, -1, 0
	s_delay_alu instid0(SALU_CYCLE_1)
	s_and_b32 vcc_lo, exec_lo, s3
	s_xor_b32 s3, s3, -1
	s_cbranch_vccnz .LBB13_2
; %bb.1:
	s_load_b32 s12, s[12:13], 0x0
.LBB13_2:
	s_and_not1_b32 vcc_lo, exec_lo, s3
	s_cbranch_vccnz .LBB13_4
; %bb.3:
	s_load_b32 s14, s[14:15], 0x0
.LBB13_4:
	s_wait_kmcnt 0x0
	s_cmp_neq_f32 s12, 0
	s_cselect_b32 s3, -1, 0
	s_cmp_neq_f32 s14, 1.0
	s_cselect_b32 s4, -1, 0
	s_delay_alu instid0(SALU_CYCLE_1) | instskip(NEXT) | instid1(SALU_CYCLE_1)
	s_or_b32 s3, s3, s4
	s_and_not1_b32 vcc_lo, exec_lo, s3
	s_cbranch_vccnz .LBB13_27
; %bb.5:
	s_load_b64 s[4:5], s[0:1], 0x18
	s_wait_kmcnt 0x0
	s_cmp_eq_u64 s[4:5], 0
	s_cbranch_scc1 .LBB13_7
; %bb.6:
	s_mov_b32 s6, ttmp9
	s_ashr_i32 s7, ttmp9, 31
	s_delay_alu instid0(SALU_CYCLE_1) | instskip(NEXT) | instid1(SALU_CYCLE_1)
	s_lshl_b64 s[6:7], s[6:7], 2
	s_add_nc_u64 s[4:5], s[4:5], s[6:7]
	s_load_b32 s3, s[4:5], 0x0
	s_wait_kmcnt 0x0
	s_sub_co_i32 s24, s3, s2
	s_branch .LBB13_8
.LBB13_7:
	s_mov_b32 s24, ttmp9
.LBB13_8:
	s_load_b32 s16, s[0:1], 0x40
	v_lshrrev_b32_e32 v1, 4, v0
	s_mov_b32 s3, exec_lo
	s_wait_kmcnt 0x0
	s_delay_alu instid0(VALU_DEP_1)
	v_cmpx_gt_i32_e64 s16, v1
	s_cbranch_execz .LBB13_27
; %bb.9:
	s_clause 0x2
	s_load_b256 s[4:11], s[0:1], 0x20
	s_load_b64 s[18:19], s[0:1], 0x58
	s_load_b64 s[20:21], s[0:1], 0x48
	v_mbcnt_lo_u32_b32 v2, -1, 0
	s_ashr_i32 s25, s24, 31
	s_load_b32 s13, s[0:1], 0x0
	s_lshl_b64 s[26:27], s[24:25], 3
	v_dual_mov_b32 v4, 0 :: v_dual_and_b32 v3, 15, v0
	v_xor_b32_e32 v5, 8, v2
	v_xor_b32_e32 v6, 4, v2
	v_xor_b32_e32 v7, 2, v2
	v_xor_b32_e32 v8, 1, v2
	s_mov_b32 s3, 0
	v_cmp_gt_i32_e32 vcc_lo, 32, v5
	v_mul_lo_u32 v0, s16, v1
	s_mov_b32 s17, s3
	v_mul_lo_u32 v11, s16, v3
	s_wait_alu 0xfffe
	s_mul_u64 s[22:23], s[16:17], s[16:17]
	v_cndmask_b32_e32 v5, v2, v5, vcc_lo
	s_wait_kmcnt 0x0
	s_add_nc_u64 s[4:5], s[4:5], s[26:27]
	s_add_nc_u64 s[26:27], s[6:7], s[26:27]
	s_cmp_eq_u64 s[6:7], 0
	s_add_nc_u64 s[6:7], s[4:5], 8
	v_cmp_gt_i32_e32 vcc_lo, 32, v6
	s_cselect_b32 s7, s7, s27
	s_cselect_b32 s6, s6, s26
	s_load_b64 s[26:27], s[4:5], 0x0
	s_load_b64 s[28:29], s[6:7], 0x0
	s_cmp_lg_u32 s13, 0
	v_cndmask_b32_e32 v6, v2, v6, vcc_lo
	v_cmp_gt_i32_e32 vcc_lo, 32, v7
	s_cselect_b32 s13, -1, 0
	s_cmp_eq_f32 s14, 0
	v_cmp_gt_u32_e64 s0, s16, v3
	v_cmp_eq_u32_e64 s1, 15, v3
	s_wait_alu 0xfffd
	v_cndmask_b32_e32 v7, v2, v7, vcc_lo
	v_cmp_gt_i32_e32 vcc_lo, 32, v8
	v_lshlrev_b32_e32 v13, 2, v6
	s_cselect_b32 s15, -1, 0
	s_delay_alu instid0(VALU_DEP_3) | instskip(SKIP_3) | instid1(VALU_DEP_2)
	v_lshlrev_b32_e32 v14, 2, v7
	s_wait_alu 0xfffd
	v_cndmask_b32_e32 v2, v2, v8, vcc_lo
	v_lshlrev_b32_e32 v12, 2, v5
	v_lshlrev_b32_e32 v15, 2, v2
	s_wait_kmcnt 0x0
	v_cmp_lt_i64_e64 s17, s[26:27], s[28:29]
	s_sub_nc_u64 s[4:5], s[26:27], s[2:3]
	s_sub_nc_u64 s[6:7], s[28:29], s[2:3]
	s_mul_i32 s28, s24, s16
	s_mul_u64 s[24:25], s[4:5], s[22:23]
	s_lshl_b32 s29, s16, 4
	s_branch .LBB13_11
.LBB13_10:                              ;   in Loop: Header=BB13_11 Depth=1
	s_wait_alu 0xfffe
	s_or_b32 exec_lo, exec_lo, s26
	v_add_nc_u32_e32 v1, 16, v1
	v_add_nc_u32_e32 v0, s29, v0
	s_delay_alu instid0(VALU_DEP_2) | instskip(SKIP_1) | instid1(SALU_CYCLE_1)
	v_cmp_le_i32_e32 vcc_lo, s16, v1
	s_or_b32 s3, vcc_lo, s3
	s_and_not1_b32 exec_lo, exec_lo, s3
	s_cbranch_execz .LBB13_27
.LBB13_11:                              ; =>This Loop Header: Depth=1
                                        ;     Child Loop BB13_15 Depth 2
                                        ;       Child Loop BB13_18 Depth 3
	v_mov_b32_e32 v16, 0
	s_and_not1_b32 vcc_lo, exec_lo, s17
	s_wait_alu 0xfffe
	s_cbranch_vccnz .LBB13_22
; %bb.12:                               ;   in Loop: Header=BB13_11 Depth=1
	s_wait_dscnt 0x0
	v_ashrrev_i32_e32 v5, 31, v0
	v_add_co_u32 v17, vcc_lo, s24, v0
	v_ashrrev_i32_e32 v2, 31, v1
	v_mov_b32_e32 v16, 0
	s_wait_alu 0xfffd
	v_add_co_ci_u32_e64 v18, null, s25, v5, vcc_lo
	s_mov_b64 s[26:27], s[4:5]
	s_branch .LBB13_15
.LBB13_13:                              ;   in Loop: Header=BB13_15 Depth=2
	s_or_b32 exec_lo, exec_lo, s31
.LBB13_14:                              ;   in Loop: Header=BB13_15 Depth=2
	s_delay_alu instid0(SALU_CYCLE_1)
	s_or_b32 exec_lo, exec_lo, s30
	s_wait_alu 0xfffe
	s_add_nc_u64 s[26:27], s[26:27], 1
	v_add_co_u32 v17, vcc_lo, v17, s22
	s_wait_alu 0xfffe
	v_cmp_ge_i64_e64 s30, s[26:27], s[6:7]
	s_wait_alu 0xfffd
	v_add_co_ci_u32_e64 v18, null, s23, v18, vcc_lo
	s_and_b32 vcc_lo, exec_lo, s30
	s_wait_alu 0xfffe
	s_cbranch_vccnz .LBB13_22
.LBB13_15:                              ;   Parent Loop BB13_11 Depth=1
                                        ; =>  This Loop Header: Depth=2
                                        ;       Child Loop BB13_18 Depth 3
	s_and_saveexec_b32 s30, s0
	s_cbranch_execz .LBB13_14
; %bb.16:                               ;   in Loop: Header=BB13_15 Depth=2
	s_wait_alu 0xfffe
	s_lshl_b64 s[34:35], s[26:27], 2
	v_mad_co_u64_u32 v[5:6], null, s22, s26, v[1:2]
	s_wait_alu 0xfffe
	s_add_nc_u64 s[34:35], s[8:9], s[34:35]
	s_mul_i32 s33, s23, s26
	s_load_b32 s31, s[34:35], 0x0
	s_mul_i32 s34, s22, s27
	v_dual_mov_b32 v19, v11 :: v_dual_mov_b32 v8, v4
	v_mov_b32_e32 v7, v3
	s_wait_alu 0xfffe
	v_add3_u32 v6, s34, s33, v6
	s_wait_kmcnt 0x0
	s_sub_co_i32 s31, s31, s2
	s_delay_alu instid0(SALU_CYCLE_1)
	s_mul_i32 s33, s31, s16
	s_mov_b32 s31, 0
	s_branch .LBB13_18
.LBB13_17:                              ;   in Loop: Header=BB13_18 Depth=3
	v_add_nc_u32_e32 v20, s33, v7
	s_delay_alu instid0(VALU_DEP_2) | instskip(SKIP_1) | instid1(VALU_DEP_3)
	v_lshlrev_b64_e32 v[9:10], 2, v[9:10]
	v_add_nc_u32_e32 v19, s29, v19
	v_ashrrev_i32_e32 v21, 31, v20
	s_delay_alu instid0(VALU_DEP_3) | instskip(SKIP_1) | instid1(VALU_DEP_4)
	v_add_co_u32 v9, vcc_lo, s10, v9
	s_wait_alu 0xfffd
	v_add_co_ci_u32_e64 v10, null, s11, v10, vcc_lo
	s_delay_alu instid0(VALU_DEP_3) | instskip(NEXT) | instid1(VALU_DEP_1)
	v_lshlrev_b64_e32 v[20:21], 2, v[20:21]
	v_add_co_u32 v20, vcc_lo, s20, v20
	s_wait_alu 0xfffd
	s_delay_alu instid0(VALU_DEP_2)
	v_add_co_ci_u32_e64 v21, null, s21, v21, vcc_lo
	global_load_b32 v9, v[9:10], off
	global_load_b32 v10, v[20:21], off
	v_add_co_u32 v7, vcc_lo, v7, 16
	s_wait_alu 0xfffd
	v_add_co_ci_u32_e64 v8, null, 0, v8, vcc_lo
	s_delay_alu instid0(VALU_DEP_2)
	v_cmp_le_i32_e32 vcc_lo, s16, v7
	s_or_b32 s31, vcc_lo, s31
	s_wait_loadcnt 0x0
	v_fmac_f32_e32 v16, v9, v10
	s_and_not1_b32 exec_lo, exec_lo, s31
	s_cbranch_execz .LBB13_13
.LBB13_18:                              ;   Parent Loop BB13_11 Depth=1
                                        ;     Parent Loop BB13_15 Depth=2
                                        ; =>    This Inner Loop Header: Depth=3
	s_and_b32 vcc_lo, exec_lo, s13
	s_wait_alu 0xfffe
	s_cbranch_vccz .LBB13_20
; %bb.19:                               ;   in Loop: Header=BB13_18 Depth=3
	v_ashrrev_i32_e32 v10, 31, v19
	v_add_co_u32 v9, vcc_lo, v5, v19
	s_wait_alu 0xfffd
	s_delay_alu instid0(VALU_DEP_2)
	v_add_co_ci_u32_e64 v10, null, v6, v10, vcc_lo
	s_cbranch_execnz .LBB13_17
	s_branch .LBB13_21
.LBB13_20:                              ;   in Loop: Header=BB13_18 Depth=3
                                        ; implicit-def: $vgpr9_vgpr10
.LBB13_21:                              ;   in Loop: Header=BB13_18 Depth=3
	v_add_co_u32 v9, vcc_lo, v17, v7
	s_wait_alu 0xfffd
	v_add_co_ci_u32_e64 v10, null, v18, v8, vcc_lo
	s_branch .LBB13_17
.LBB13_22:                              ;   in Loop: Header=BB13_11 Depth=1
	ds_bpermute_b32 v2, v12, v16
	s_wait_dscnt 0x0
	v_add_f32_e32 v2, v16, v2
	ds_bpermute_b32 v5, v13, v2
	s_wait_dscnt 0x0
	v_add_f32_e32 v2, v2, v5
	;; [unrolled: 3-line block ×3, first 2 shown]
	ds_bpermute_b32 v5, v15, v2
	s_and_saveexec_b32 s26, s1
	s_cbranch_execz .LBB13_10
; %bb.23:                               ;   in Loop: Header=BB13_11 Depth=1
	s_wait_dscnt 0x0
	v_add_f32_e32 v2, v2, v5
	v_add_nc_u32_e32 v5, s28, v1
	s_and_b32 vcc_lo, exec_lo, s15
	s_delay_alu instid0(VALU_DEP_2) | instskip(NEXT) | instid1(VALU_DEP_2)
	v_mul_f32_e32 v2, s12, v2
	v_ashrrev_i32_e32 v6, 31, v5
	s_wait_alu 0xfffe
	s_cbranch_vccz .LBB13_25
; %bb.24:                               ;   in Loop: Header=BB13_11 Depth=1
	s_delay_alu instid0(VALU_DEP_1) | instskip(NEXT) | instid1(VALU_DEP_1)
	v_lshlrev_b64_e32 v[7:8], 2, v[5:6]
	v_add_co_u32 v7, vcc_lo, s18, v7
	s_wait_alu 0xfffd
	s_delay_alu instid0(VALU_DEP_2)
	v_add_co_ci_u32_e64 v8, null, s19, v8, vcc_lo
	global_store_b32 v[7:8], v2, off
	s_cbranch_execnz .LBB13_10
	s_branch .LBB13_26
.LBB13_25:                              ;   in Loop: Header=BB13_11 Depth=1
.LBB13_26:                              ;   in Loop: Header=BB13_11 Depth=1
	s_delay_alu instid0(VALU_DEP_1) | instskip(NEXT) | instid1(VALU_DEP_1)
	v_lshlrev_b64_e32 v[5:6], 2, v[5:6]
	v_add_co_u32 v5, vcc_lo, s18, v5
	s_wait_alu 0xfffd
	s_delay_alu instid0(VALU_DEP_2)
	v_add_co_ci_u32_e64 v6, null, s19, v6, vcc_lo
	global_load_b32 v7, v[5:6], off
	s_wait_loadcnt 0x0
	v_fmac_f32_e32 v2, s14, v7
	global_store_b32 v[5:6], v2, off
	s_branch .LBB13_10
.LBB13_27:
	s_endpgm
	.section	.rodata,"a",@progbits
	.p2align	6, 0x0
	.amdhsa_kernel _ZN9rocsparseL22bsrxmvn_general_kernelILj256ELj16EflifffEEv20rocsparse_direction_NS_24const_host_device_scalarIT1_EET3_PKS5_PKT2_SA_S7_PKT4_S5_PKT5_S4_PT6_21rocsparse_index_base_b
		.amdhsa_group_segment_fixed_size 0
		.amdhsa_private_segment_fixed_size 0
		.amdhsa_kernarg_size 104
		.amdhsa_user_sgpr_count 2
		.amdhsa_user_sgpr_dispatch_ptr 0
		.amdhsa_user_sgpr_queue_ptr 0
		.amdhsa_user_sgpr_kernarg_segment_ptr 1
		.amdhsa_user_sgpr_dispatch_id 0
		.amdhsa_user_sgpr_private_segment_size 0
		.amdhsa_wavefront_size32 1
		.amdhsa_uses_dynamic_stack 0
		.amdhsa_enable_private_segment 0
		.amdhsa_system_sgpr_workgroup_id_x 1
		.amdhsa_system_sgpr_workgroup_id_y 0
		.amdhsa_system_sgpr_workgroup_id_z 0
		.amdhsa_system_sgpr_workgroup_info 0
		.amdhsa_system_vgpr_workitem_id 0
		.amdhsa_next_free_vgpr 22
		.amdhsa_next_free_sgpr 36
		.amdhsa_reserve_vcc 1
		.amdhsa_float_round_mode_32 0
		.amdhsa_float_round_mode_16_64 0
		.amdhsa_float_denorm_mode_32 3
		.amdhsa_float_denorm_mode_16_64 3
		.amdhsa_fp16_overflow 0
		.amdhsa_workgroup_processor_mode 1
		.amdhsa_memory_ordered 1
		.amdhsa_forward_progress 1
		.amdhsa_inst_pref_size 10
		.amdhsa_round_robin_scheduling 0
		.amdhsa_exception_fp_ieee_invalid_op 0
		.amdhsa_exception_fp_denorm_src 0
		.amdhsa_exception_fp_ieee_div_zero 0
		.amdhsa_exception_fp_ieee_overflow 0
		.amdhsa_exception_fp_ieee_underflow 0
		.amdhsa_exception_fp_ieee_inexact 0
		.amdhsa_exception_int_div_zero 0
	.end_amdhsa_kernel
	.section	.text._ZN9rocsparseL22bsrxmvn_general_kernelILj256ELj16EflifffEEv20rocsparse_direction_NS_24const_host_device_scalarIT1_EET3_PKS5_PKT2_SA_S7_PKT4_S5_PKT5_S4_PT6_21rocsparse_index_base_b,"axG",@progbits,_ZN9rocsparseL22bsrxmvn_general_kernelILj256ELj16EflifffEEv20rocsparse_direction_NS_24const_host_device_scalarIT1_EET3_PKS5_PKT2_SA_S7_PKT4_S5_PKT5_S4_PT6_21rocsparse_index_base_b,comdat
.Lfunc_end13:
	.size	_ZN9rocsparseL22bsrxmvn_general_kernelILj256ELj16EflifffEEv20rocsparse_direction_NS_24const_host_device_scalarIT1_EET3_PKS5_PKT2_SA_S7_PKT4_S5_PKT5_S4_PT6_21rocsparse_index_base_b, .Lfunc_end13-_ZN9rocsparseL22bsrxmvn_general_kernelILj256ELj16EflifffEEv20rocsparse_direction_NS_24const_host_device_scalarIT1_EET3_PKS5_PKT2_SA_S7_PKT4_S5_PKT5_S4_PT6_21rocsparse_index_base_b
                                        ; -- End function
	.set _ZN9rocsparseL22bsrxmvn_general_kernelILj256ELj16EflifffEEv20rocsparse_direction_NS_24const_host_device_scalarIT1_EET3_PKS5_PKT2_SA_S7_PKT4_S5_PKT5_S4_PT6_21rocsparse_index_base_b.num_vgpr, 22
	.set _ZN9rocsparseL22bsrxmvn_general_kernelILj256ELj16EflifffEEv20rocsparse_direction_NS_24const_host_device_scalarIT1_EET3_PKS5_PKT2_SA_S7_PKT4_S5_PKT5_S4_PT6_21rocsparse_index_base_b.num_agpr, 0
	.set _ZN9rocsparseL22bsrxmvn_general_kernelILj256ELj16EflifffEEv20rocsparse_direction_NS_24const_host_device_scalarIT1_EET3_PKS5_PKT2_SA_S7_PKT4_S5_PKT5_S4_PT6_21rocsparse_index_base_b.numbered_sgpr, 36
	.set _ZN9rocsparseL22bsrxmvn_general_kernelILj256ELj16EflifffEEv20rocsparse_direction_NS_24const_host_device_scalarIT1_EET3_PKS5_PKT2_SA_S7_PKT4_S5_PKT5_S4_PT6_21rocsparse_index_base_b.num_named_barrier, 0
	.set _ZN9rocsparseL22bsrxmvn_general_kernelILj256ELj16EflifffEEv20rocsparse_direction_NS_24const_host_device_scalarIT1_EET3_PKS5_PKT2_SA_S7_PKT4_S5_PKT5_S4_PT6_21rocsparse_index_base_b.private_seg_size, 0
	.set _ZN9rocsparseL22bsrxmvn_general_kernelILj256ELj16EflifffEEv20rocsparse_direction_NS_24const_host_device_scalarIT1_EET3_PKS5_PKT2_SA_S7_PKT4_S5_PKT5_S4_PT6_21rocsparse_index_base_b.uses_vcc, 1
	.set _ZN9rocsparseL22bsrxmvn_general_kernelILj256ELj16EflifffEEv20rocsparse_direction_NS_24const_host_device_scalarIT1_EET3_PKS5_PKT2_SA_S7_PKT4_S5_PKT5_S4_PT6_21rocsparse_index_base_b.uses_flat_scratch, 0
	.set _ZN9rocsparseL22bsrxmvn_general_kernelILj256ELj16EflifffEEv20rocsparse_direction_NS_24const_host_device_scalarIT1_EET3_PKS5_PKT2_SA_S7_PKT4_S5_PKT5_S4_PT6_21rocsparse_index_base_b.has_dyn_sized_stack, 0
	.set _ZN9rocsparseL22bsrxmvn_general_kernelILj256ELj16EflifffEEv20rocsparse_direction_NS_24const_host_device_scalarIT1_EET3_PKS5_PKT2_SA_S7_PKT4_S5_PKT5_S4_PT6_21rocsparse_index_base_b.has_recursion, 0
	.set _ZN9rocsparseL22bsrxmvn_general_kernelILj256ELj16EflifffEEv20rocsparse_direction_NS_24const_host_device_scalarIT1_EET3_PKS5_PKT2_SA_S7_PKT4_S5_PKT5_S4_PT6_21rocsparse_index_base_b.has_indirect_call, 0
	.section	.AMDGPU.csdata,"",@progbits
; Kernel info:
; codeLenInByte = 1196
; TotalNumSgprs: 38
; NumVgprs: 22
; ScratchSize: 0
; MemoryBound: 0
; FloatMode: 240
; IeeeMode: 1
; LDSByteSize: 0 bytes/workgroup (compile time only)
; SGPRBlocks: 0
; VGPRBlocks: 2
; NumSGPRsForWavesPerEU: 38
; NumVGPRsForWavesPerEU: 22
; Occupancy: 16
; WaveLimiterHint : 1
; COMPUTE_PGM_RSRC2:SCRATCH_EN: 0
; COMPUTE_PGM_RSRC2:USER_SGPR: 2
; COMPUTE_PGM_RSRC2:TRAP_HANDLER: 0
; COMPUTE_PGM_RSRC2:TGID_X_EN: 1
; COMPUTE_PGM_RSRC2:TGID_Y_EN: 0
; COMPUTE_PGM_RSRC2:TGID_Z_EN: 0
; COMPUTE_PGM_RSRC2:TIDIG_COMP_CNT: 0
	.section	.text._ZN9rocsparseL22bsrxmvn_general_kernelILj1024ELj32EflifffEEv20rocsparse_direction_NS_24const_host_device_scalarIT1_EET3_PKS5_PKT2_SA_S7_PKT4_S5_PKT5_S4_PT6_21rocsparse_index_base_b,"axG",@progbits,_ZN9rocsparseL22bsrxmvn_general_kernelILj1024ELj32EflifffEEv20rocsparse_direction_NS_24const_host_device_scalarIT1_EET3_PKS5_PKT2_SA_S7_PKT4_S5_PKT5_S4_PT6_21rocsparse_index_base_b,comdat
	.globl	_ZN9rocsparseL22bsrxmvn_general_kernelILj1024ELj32EflifffEEv20rocsparse_direction_NS_24const_host_device_scalarIT1_EET3_PKS5_PKT2_SA_S7_PKT4_S5_PKT5_S4_PT6_21rocsparse_index_base_b ; -- Begin function _ZN9rocsparseL22bsrxmvn_general_kernelILj1024ELj32EflifffEEv20rocsparse_direction_NS_24const_host_device_scalarIT1_EET3_PKS5_PKT2_SA_S7_PKT4_S5_PKT5_S4_PT6_21rocsparse_index_base_b
	.p2align	8
	.type	_ZN9rocsparseL22bsrxmvn_general_kernelILj1024ELj32EflifffEEv20rocsparse_direction_NS_24const_host_device_scalarIT1_EET3_PKS5_PKT2_SA_S7_PKT4_S5_PKT5_S4_PT6_21rocsparse_index_base_b,@function
_ZN9rocsparseL22bsrxmvn_general_kernelILj1024ELj32EflifffEEv20rocsparse_direction_NS_24const_host_device_scalarIT1_EET3_PKS5_PKT2_SA_S7_PKT4_S5_PKT5_S4_PT6_21rocsparse_index_base_b: ; @_ZN9rocsparseL22bsrxmvn_general_kernelILj1024ELj32EflifffEEv20rocsparse_direction_NS_24const_host_device_scalarIT1_EET3_PKS5_PKT2_SA_S7_PKT4_S5_PKT5_S4_PT6_21rocsparse_index_base_b
; %bb.0:
	s_clause 0x2
	s_load_b64 s[2:3], s[0:1], 0x60
	s_load_b64 s[12:13], s[0:1], 0x8
	;; [unrolled: 1-line block ×3, first 2 shown]
	s_wait_kmcnt 0x0
	s_bitcmp1_b32 s3, 0
	s_cselect_b32 s3, -1, 0
	s_delay_alu instid0(SALU_CYCLE_1)
	s_and_b32 vcc_lo, exec_lo, s3
	s_xor_b32 s3, s3, -1
	s_cbranch_vccnz .LBB14_2
; %bb.1:
	s_load_b32 s12, s[12:13], 0x0
.LBB14_2:
	s_and_not1_b32 vcc_lo, exec_lo, s3
	s_cbranch_vccnz .LBB14_4
; %bb.3:
	s_load_b32 s14, s[14:15], 0x0
.LBB14_4:
	s_wait_kmcnt 0x0
	s_cmp_neq_f32 s12, 0
	s_cselect_b32 s3, -1, 0
	s_cmp_neq_f32 s14, 1.0
	s_cselect_b32 s4, -1, 0
	s_delay_alu instid0(SALU_CYCLE_1) | instskip(NEXT) | instid1(SALU_CYCLE_1)
	s_or_b32 s3, s3, s4
	s_and_not1_b32 vcc_lo, exec_lo, s3
	s_cbranch_vccnz .LBB14_27
; %bb.5:
	s_load_b64 s[4:5], s[0:1], 0x18
	s_wait_kmcnt 0x0
	s_cmp_eq_u64 s[4:5], 0
	s_cbranch_scc1 .LBB14_7
; %bb.6:
	s_mov_b32 s6, ttmp9
	s_ashr_i32 s7, ttmp9, 31
	s_delay_alu instid0(SALU_CYCLE_1) | instskip(NEXT) | instid1(SALU_CYCLE_1)
	s_lshl_b64 s[6:7], s[6:7], 2
	s_add_nc_u64 s[4:5], s[4:5], s[6:7]
	s_load_b32 s3, s[4:5], 0x0
	s_wait_kmcnt 0x0
	s_sub_co_i32 s24, s3, s2
	s_branch .LBB14_8
.LBB14_7:
	s_mov_b32 s24, ttmp9
.LBB14_8:
	s_load_b32 s16, s[0:1], 0x40
	v_lshrrev_b32_e32 v1, 5, v0
	s_mov_b32 s3, exec_lo
	s_wait_kmcnt 0x0
	s_delay_alu instid0(VALU_DEP_1)
	v_cmpx_gt_i32_e64 s16, v1
	s_cbranch_execz .LBB14_27
; %bb.9:
	s_clause 0x2
	s_load_b256 s[4:11], s[0:1], 0x20
	s_load_b64 s[18:19], s[0:1], 0x58
	s_load_b64 s[20:21], s[0:1], 0x48
	v_dual_mov_b32 v2, 0 :: v_dual_and_b32 v3, 31, v0
	v_mbcnt_lo_u32_b32 v0, -1, 0
	s_ashr_i32 s25, s24, 31
	s_load_b32 s13, s[0:1], 0x0
	s_lshl_b64 s[26:27], s[24:25], 3
	s_mov_b32 s3, 0
	v_xor_b32_e32 v4, 16, v0
	v_xor_b32_e32 v5, 8, v0
	;; [unrolled: 1-line block ×5, first 2 shown]
	v_cmp_gt_i32_e32 vcc_lo, 32, v4
	s_mov_b32 s17, s3
	v_mul_lo_u32 v15, s16, v1
	v_mul_lo_u32 v16, s16, v3
	s_wait_alu 0xfffe
	s_mul_u64 s[22:23], s[16:17], s[16:17]
	s_wait_kmcnt 0x0
	s_add_nc_u64 s[4:5], s[4:5], s[26:27]
	v_cndmask_b32_e32 v4, v0, v4, vcc_lo
	v_cmp_gt_i32_e32 vcc_lo, 32, v5
	s_add_nc_u64 s[26:27], s[6:7], s[26:27]
	s_cmp_eq_u64 s[6:7], 0
	s_add_nc_u64 s[6:7], s[4:5], 8
	v_cmp_gt_u32_e64 s0, s16, v3
	s_cselect_b32 s7, s7, s27
	s_cselect_b32 s6, s6, s26
	s_load_b64 s[26:27], s[4:5], 0x0
	s_load_b64 s[28:29], s[6:7], 0x0
	v_cndmask_b32_e32 v5, v0, v5, vcc_lo
	v_cmp_gt_i32_e32 vcc_lo, 32, v6
	s_cmp_lg_u32 s13, 0
	v_cmp_eq_u32_e64 s1, 31, v3
	s_cselect_b32 s13, -1, 0
	s_cmp_eq_f32 s14, 0
	s_wait_alu 0xfffd
	v_cndmask_b32_e32 v6, v0, v6, vcc_lo
	v_cmp_gt_i32_e32 vcc_lo, 32, v7
	v_lshlrev_b32_e32 v11, 2, v5
	s_cselect_b32 s15, -1, 0
	s_wait_alu 0xfffd
	v_cndmask_b32_e32 v7, v0, v7, vcc_lo
	v_cmp_gt_i32_e32 vcc_lo, 32, v8
	s_wait_alu 0xfffd
	s_delay_alu instid0(VALU_DEP_2)
	v_dual_cndmask_b32 v8, v0, v8 :: v_dual_lshlrev_b32 v13, 2, v7
	s_wait_kmcnt 0x0
	v_cmp_lt_i64_e64 s17, s[26:27], s[28:29]
	v_lshlrev_b32_e32 v0, 2, v4
	v_lshlrev_b32_e32 v12, 2, v6
	v_mov_b32_e32 v4, v2
	v_lshlrev_b32_e32 v14, 2, v8
	s_sub_nc_u64 s[4:5], s[26:27], s[2:3]
	s_sub_nc_u64 s[6:7], s[28:29], s[2:3]
	s_mul_i32 s28, s24, s16
	s_mul_u64 s[24:25], s[4:5], s[22:23]
	s_lshl_b32 s29, s16, 5
	s_branch .LBB14_11
.LBB14_10:                              ;   in Loop: Header=BB14_11 Depth=1
	s_wait_alu 0xfffe
	s_or_b32 exec_lo, exec_lo, s26
	v_add_nc_u32_e32 v1, 32, v1
	v_add_nc_u32_e32 v15, s29, v15
	s_delay_alu instid0(VALU_DEP_2) | instskip(SKIP_1) | instid1(SALU_CYCLE_1)
	v_cmp_le_i32_e32 vcc_lo, s16, v1
	s_or_b32 s3, vcc_lo, s3
	s_and_not1_b32 exec_lo, exec_lo, s3
	s_cbranch_execz .LBB14_27
.LBB14_11:                              ; =>This Loop Header: Depth=1
                                        ;     Child Loop BB14_15 Depth 2
                                        ;       Child Loop BB14_18 Depth 3
	v_mov_b32_e32 v17, 0
	s_and_not1_b32 vcc_lo, exec_lo, s17
	s_wait_alu 0xfffe
	s_cbranch_vccnz .LBB14_22
; %bb.12:                               ;   in Loop: Header=BB14_11 Depth=1
	v_ashrrev_i32_e32 v5, 31, v15
	v_add_co_u32 v18, vcc_lo, s24, v15
	v_mov_b32_e32 v17, 0
	s_mov_b64 s[26:27], s[4:5]
	s_wait_alu 0xfffd
	v_add_co_ci_u32_e64 v19, null, s25, v5, vcc_lo
	s_branch .LBB14_15
.LBB14_13:                              ;   in Loop: Header=BB14_15 Depth=2
	s_or_b32 exec_lo, exec_lo, s31
.LBB14_14:                              ;   in Loop: Header=BB14_15 Depth=2
	s_delay_alu instid0(SALU_CYCLE_1)
	s_or_b32 exec_lo, exec_lo, s30
	s_wait_alu 0xfffe
	s_add_nc_u64 s[26:27], s[26:27], 1
	v_add_co_u32 v18, vcc_lo, v18, s22
	s_wait_alu 0xfffe
	v_cmp_ge_i64_e64 s30, s[26:27], s[6:7]
	s_wait_alu 0xfffd
	v_add_co_ci_u32_e64 v19, null, s23, v19, vcc_lo
	s_and_b32 vcc_lo, exec_lo, s30
	s_wait_alu 0xfffe
	s_cbranch_vccnz .LBB14_22
.LBB14_15:                              ;   Parent Loop BB14_11 Depth=1
                                        ; =>  This Loop Header: Depth=2
                                        ;       Child Loop BB14_18 Depth 3
	s_and_saveexec_b32 s30, s0
	s_cbranch_execz .LBB14_14
; %bb.16:                               ;   in Loop: Header=BB14_15 Depth=2
	s_wait_alu 0xfffe
	s_lshl_b64 s[34:35], s[26:27], 2
	s_wait_dscnt 0x0
	v_mad_co_u64_u32 v[5:6], null, s22, s26, v[1:2]
	s_wait_alu 0xfffe
	s_add_nc_u64 s[34:35], s[8:9], s[34:35]
	s_mul_i32 s33, s23, s26
	s_load_b32 s31, s[34:35], 0x0
	s_mul_i32 s34, s22, s27
	v_mov_b32_e32 v8, v4
	v_dual_mov_b32 v20, v16 :: v_dual_mov_b32 v7, v3
	s_wait_alu 0xfffe
	v_add3_u32 v6, s34, s33, v6
	s_wait_kmcnt 0x0
	s_sub_co_i32 s31, s31, s2
	s_delay_alu instid0(SALU_CYCLE_1)
	s_mul_i32 s33, s31, s16
	s_mov_b32 s31, 0
	s_branch .LBB14_18
.LBB14_17:                              ;   in Loop: Header=BB14_18 Depth=3
	v_add_nc_u32_e32 v21, s33, v7
	s_delay_alu instid0(VALU_DEP_2) | instskip(SKIP_1) | instid1(VALU_DEP_3)
	v_lshlrev_b64_e32 v[9:10], 2, v[9:10]
	v_add_nc_u32_e32 v20, s29, v20
	v_ashrrev_i32_e32 v22, 31, v21
	s_delay_alu instid0(VALU_DEP_3) | instskip(SKIP_1) | instid1(VALU_DEP_4)
	v_add_co_u32 v9, vcc_lo, s10, v9
	s_wait_alu 0xfffd
	v_add_co_ci_u32_e64 v10, null, s11, v10, vcc_lo
	s_delay_alu instid0(VALU_DEP_3) | instskip(NEXT) | instid1(VALU_DEP_1)
	v_lshlrev_b64_e32 v[21:22], 2, v[21:22]
	v_add_co_u32 v21, vcc_lo, s20, v21
	s_wait_alu 0xfffd
	s_delay_alu instid0(VALU_DEP_2)
	v_add_co_ci_u32_e64 v22, null, s21, v22, vcc_lo
	global_load_b32 v9, v[9:10], off
	global_load_b32 v10, v[21:22], off
	v_add_co_u32 v7, vcc_lo, v7, 32
	s_wait_alu 0xfffd
	v_add_co_ci_u32_e64 v8, null, 0, v8, vcc_lo
	s_delay_alu instid0(VALU_DEP_2)
	v_cmp_le_i32_e32 vcc_lo, s16, v7
	s_or_b32 s31, vcc_lo, s31
	s_wait_loadcnt 0x0
	v_fmac_f32_e32 v17, v9, v10
	s_and_not1_b32 exec_lo, exec_lo, s31
	s_cbranch_execz .LBB14_13
.LBB14_18:                              ;   Parent Loop BB14_11 Depth=1
                                        ;     Parent Loop BB14_15 Depth=2
                                        ; =>    This Inner Loop Header: Depth=3
	s_and_b32 vcc_lo, exec_lo, s13
	s_wait_alu 0xfffe
	s_cbranch_vccz .LBB14_20
; %bb.19:                               ;   in Loop: Header=BB14_18 Depth=3
	v_ashrrev_i32_e32 v10, 31, v20
	v_add_co_u32 v9, vcc_lo, v5, v20
	s_wait_alu 0xfffd
	s_delay_alu instid0(VALU_DEP_2)
	v_add_co_ci_u32_e64 v10, null, v6, v10, vcc_lo
	s_cbranch_execnz .LBB14_17
	s_branch .LBB14_21
.LBB14_20:                              ;   in Loop: Header=BB14_18 Depth=3
                                        ; implicit-def: $vgpr9_vgpr10
.LBB14_21:                              ;   in Loop: Header=BB14_18 Depth=3
	v_add_co_u32 v9, vcc_lo, v18, v7
	s_wait_alu 0xfffd
	v_add_co_ci_u32_e64 v10, null, v19, v8, vcc_lo
	s_branch .LBB14_17
.LBB14_22:                              ;   in Loop: Header=BB14_11 Depth=1
	ds_bpermute_b32 v5, v0, v17
	s_wait_dscnt 0x0
	v_add_f32_e32 v5, v17, v5
	ds_bpermute_b32 v6, v11, v5
	s_wait_dscnt 0x0
	v_add_f32_e32 v5, v5, v6
	;; [unrolled: 3-line block ×4, first 2 shown]
	ds_bpermute_b32 v6, v14, v5
	s_and_saveexec_b32 s26, s1
	s_cbranch_execz .LBB14_10
; %bb.23:                               ;   in Loop: Header=BB14_11 Depth=1
	s_wait_dscnt 0x0
	v_dual_add_f32 v6, v5, v6 :: v_dual_add_nc_u32 v5, s28, v1
	s_and_b32 vcc_lo, exec_lo, s15
	s_delay_alu instid0(VALU_DEP_1) | instskip(NEXT) | instid1(VALU_DEP_2)
	v_mul_f32_e32 v7, s12, v6
	v_ashrrev_i32_e32 v6, 31, v5
	s_wait_alu 0xfffe
	s_cbranch_vccz .LBB14_25
; %bb.24:                               ;   in Loop: Header=BB14_11 Depth=1
	s_delay_alu instid0(VALU_DEP_1) | instskip(NEXT) | instid1(VALU_DEP_1)
	v_lshlrev_b64_e32 v[8:9], 2, v[5:6]
	v_add_co_u32 v8, vcc_lo, s18, v8
	s_wait_alu 0xfffd
	s_delay_alu instid0(VALU_DEP_2)
	v_add_co_ci_u32_e64 v9, null, s19, v9, vcc_lo
	global_store_b32 v[8:9], v7, off
	s_cbranch_execnz .LBB14_10
	s_branch .LBB14_26
.LBB14_25:                              ;   in Loop: Header=BB14_11 Depth=1
.LBB14_26:                              ;   in Loop: Header=BB14_11 Depth=1
	s_delay_alu instid0(VALU_DEP_1) | instskip(NEXT) | instid1(VALU_DEP_1)
	v_lshlrev_b64_e32 v[5:6], 2, v[5:6]
	v_add_co_u32 v5, vcc_lo, s18, v5
	s_wait_alu 0xfffd
	s_delay_alu instid0(VALU_DEP_2)
	v_add_co_ci_u32_e64 v6, null, s19, v6, vcc_lo
	global_load_b32 v8, v[5:6], off
	s_wait_loadcnt 0x0
	v_fmac_f32_e32 v7, s14, v8
	global_store_b32 v[5:6], v7, off
	s_branch .LBB14_10
.LBB14_27:
	s_endpgm
	.section	.rodata,"a",@progbits
	.p2align	6, 0x0
	.amdhsa_kernel _ZN9rocsparseL22bsrxmvn_general_kernelILj1024ELj32EflifffEEv20rocsparse_direction_NS_24const_host_device_scalarIT1_EET3_PKS5_PKT2_SA_S7_PKT4_S5_PKT5_S4_PT6_21rocsparse_index_base_b
		.amdhsa_group_segment_fixed_size 0
		.amdhsa_private_segment_fixed_size 0
		.amdhsa_kernarg_size 104
		.amdhsa_user_sgpr_count 2
		.amdhsa_user_sgpr_dispatch_ptr 0
		.amdhsa_user_sgpr_queue_ptr 0
		.amdhsa_user_sgpr_kernarg_segment_ptr 1
		.amdhsa_user_sgpr_dispatch_id 0
		.amdhsa_user_sgpr_private_segment_size 0
		.amdhsa_wavefront_size32 1
		.amdhsa_uses_dynamic_stack 0
		.amdhsa_enable_private_segment 0
		.amdhsa_system_sgpr_workgroup_id_x 1
		.amdhsa_system_sgpr_workgroup_id_y 0
		.amdhsa_system_sgpr_workgroup_id_z 0
		.amdhsa_system_sgpr_workgroup_info 0
		.amdhsa_system_vgpr_workitem_id 0
		.amdhsa_next_free_vgpr 23
		.amdhsa_next_free_sgpr 36
		.amdhsa_reserve_vcc 1
		.amdhsa_float_round_mode_32 0
		.amdhsa_float_round_mode_16_64 0
		.amdhsa_float_denorm_mode_32 3
		.amdhsa_float_denorm_mode_16_64 3
		.amdhsa_fp16_overflow 0
		.amdhsa_workgroup_processor_mode 1
		.amdhsa_memory_ordered 1
		.amdhsa_forward_progress 1
		.amdhsa_inst_pref_size 10
		.amdhsa_round_robin_scheduling 0
		.amdhsa_exception_fp_ieee_invalid_op 0
		.amdhsa_exception_fp_denorm_src 0
		.amdhsa_exception_fp_ieee_div_zero 0
		.amdhsa_exception_fp_ieee_overflow 0
		.amdhsa_exception_fp_ieee_underflow 0
		.amdhsa_exception_fp_ieee_inexact 0
		.amdhsa_exception_int_div_zero 0
	.end_amdhsa_kernel
	.section	.text._ZN9rocsparseL22bsrxmvn_general_kernelILj1024ELj32EflifffEEv20rocsparse_direction_NS_24const_host_device_scalarIT1_EET3_PKS5_PKT2_SA_S7_PKT4_S5_PKT5_S4_PT6_21rocsparse_index_base_b,"axG",@progbits,_ZN9rocsparseL22bsrxmvn_general_kernelILj1024ELj32EflifffEEv20rocsparse_direction_NS_24const_host_device_scalarIT1_EET3_PKS5_PKT2_SA_S7_PKT4_S5_PKT5_S4_PT6_21rocsparse_index_base_b,comdat
.Lfunc_end14:
	.size	_ZN9rocsparseL22bsrxmvn_general_kernelILj1024ELj32EflifffEEv20rocsparse_direction_NS_24const_host_device_scalarIT1_EET3_PKS5_PKT2_SA_S7_PKT4_S5_PKT5_S4_PT6_21rocsparse_index_base_b, .Lfunc_end14-_ZN9rocsparseL22bsrxmvn_general_kernelILj1024ELj32EflifffEEv20rocsparse_direction_NS_24const_host_device_scalarIT1_EET3_PKS5_PKT2_SA_S7_PKT4_S5_PKT5_S4_PT6_21rocsparse_index_base_b
                                        ; -- End function
	.set _ZN9rocsparseL22bsrxmvn_general_kernelILj1024ELj32EflifffEEv20rocsparse_direction_NS_24const_host_device_scalarIT1_EET3_PKS5_PKT2_SA_S7_PKT4_S5_PKT5_S4_PT6_21rocsparse_index_base_b.num_vgpr, 23
	.set _ZN9rocsparseL22bsrxmvn_general_kernelILj1024ELj32EflifffEEv20rocsparse_direction_NS_24const_host_device_scalarIT1_EET3_PKS5_PKT2_SA_S7_PKT4_S5_PKT5_S4_PT6_21rocsparse_index_base_b.num_agpr, 0
	.set _ZN9rocsparseL22bsrxmvn_general_kernelILj1024ELj32EflifffEEv20rocsparse_direction_NS_24const_host_device_scalarIT1_EET3_PKS5_PKT2_SA_S7_PKT4_S5_PKT5_S4_PT6_21rocsparse_index_base_b.numbered_sgpr, 36
	.set _ZN9rocsparseL22bsrxmvn_general_kernelILj1024ELj32EflifffEEv20rocsparse_direction_NS_24const_host_device_scalarIT1_EET3_PKS5_PKT2_SA_S7_PKT4_S5_PKT5_S4_PT6_21rocsparse_index_base_b.num_named_barrier, 0
	.set _ZN9rocsparseL22bsrxmvn_general_kernelILj1024ELj32EflifffEEv20rocsparse_direction_NS_24const_host_device_scalarIT1_EET3_PKS5_PKT2_SA_S7_PKT4_S5_PKT5_S4_PT6_21rocsparse_index_base_b.private_seg_size, 0
	.set _ZN9rocsparseL22bsrxmvn_general_kernelILj1024ELj32EflifffEEv20rocsparse_direction_NS_24const_host_device_scalarIT1_EET3_PKS5_PKT2_SA_S7_PKT4_S5_PKT5_S4_PT6_21rocsparse_index_base_b.uses_vcc, 1
	.set _ZN9rocsparseL22bsrxmvn_general_kernelILj1024ELj32EflifffEEv20rocsparse_direction_NS_24const_host_device_scalarIT1_EET3_PKS5_PKT2_SA_S7_PKT4_S5_PKT5_S4_PT6_21rocsparse_index_base_b.uses_flat_scratch, 0
	.set _ZN9rocsparseL22bsrxmvn_general_kernelILj1024ELj32EflifffEEv20rocsparse_direction_NS_24const_host_device_scalarIT1_EET3_PKS5_PKT2_SA_S7_PKT4_S5_PKT5_S4_PT6_21rocsparse_index_base_b.has_dyn_sized_stack, 0
	.set _ZN9rocsparseL22bsrxmvn_general_kernelILj1024ELj32EflifffEEv20rocsparse_direction_NS_24const_host_device_scalarIT1_EET3_PKS5_PKT2_SA_S7_PKT4_S5_PKT5_S4_PT6_21rocsparse_index_base_b.has_recursion, 0
	.set _ZN9rocsparseL22bsrxmvn_general_kernelILj1024ELj32EflifffEEv20rocsparse_direction_NS_24const_host_device_scalarIT1_EET3_PKS5_PKT2_SA_S7_PKT4_S5_PKT5_S4_PT6_21rocsparse_index_base_b.has_indirect_call, 0
	.section	.AMDGPU.csdata,"",@progbits
; Kernel info:
; codeLenInByte = 1232
; TotalNumSgprs: 38
; NumVgprs: 23
; ScratchSize: 0
; MemoryBound: 0
; FloatMode: 240
; IeeeMode: 1
; LDSByteSize: 0 bytes/workgroup (compile time only)
; SGPRBlocks: 0
; VGPRBlocks: 2
; NumSGPRsForWavesPerEU: 38
; NumVGPRsForWavesPerEU: 23
; Occupancy: 16
; WaveLimiterHint : 1
; COMPUTE_PGM_RSRC2:SCRATCH_EN: 0
; COMPUTE_PGM_RSRC2:USER_SGPR: 2
; COMPUTE_PGM_RSRC2:TRAP_HANDLER: 0
; COMPUTE_PGM_RSRC2:TGID_X_EN: 1
; COMPUTE_PGM_RSRC2:TGID_Y_EN: 0
; COMPUTE_PGM_RSRC2:TGID_Z_EN: 0
; COMPUTE_PGM_RSRC2:TIDIG_COMP_CNT: 0
	.section	.text._ZN9rocsparseL22bsrxmvn_general_kernelILj64ELj8EdlidddEEv20rocsparse_direction_NS_24const_host_device_scalarIT1_EET3_PKS5_PKT2_SA_S7_PKT4_S5_PKT5_S4_PT6_21rocsparse_index_base_b,"axG",@progbits,_ZN9rocsparseL22bsrxmvn_general_kernelILj64ELj8EdlidddEEv20rocsparse_direction_NS_24const_host_device_scalarIT1_EET3_PKS5_PKT2_SA_S7_PKT4_S5_PKT5_S4_PT6_21rocsparse_index_base_b,comdat
	.globl	_ZN9rocsparseL22bsrxmvn_general_kernelILj64ELj8EdlidddEEv20rocsparse_direction_NS_24const_host_device_scalarIT1_EET3_PKS5_PKT2_SA_S7_PKT4_S5_PKT5_S4_PT6_21rocsparse_index_base_b ; -- Begin function _ZN9rocsparseL22bsrxmvn_general_kernelILj64ELj8EdlidddEEv20rocsparse_direction_NS_24const_host_device_scalarIT1_EET3_PKS5_PKT2_SA_S7_PKT4_S5_PKT5_S4_PT6_21rocsparse_index_base_b
	.p2align	8
	.type	_ZN9rocsparseL22bsrxmvn_general_kernelILj64ELj8EdlidddEEv20rocsparse_direction_NS_24const_host_device_scalarIT1_EET3_PKS5_PKT2_SA_S7_PKT4_S5_PKT5_S4_PT6_21rocsparse_index_base_b,@function
_ZN9rocsparseL22bsrxmvn_general_kernelILj64ELj8EdlidddEEv20rocsparse_direction_NS_24const_host_device_scalarIT1_EET3_PKS5_PKT2_SA_S7_PKT4_S5_PKT5_S4_PT6_21rocsparse_index_base_b: ; @_ZN9rocsparseL22bsrxmvn_general_kernelILj64ELj8EdlidddEEv20rocsparse_direction_NS_24const_host_device_scalarIT1_EET3_PKS5_PKT2_SA_S7_PKT4_S5_PKT5_S4_PT6_21rocsparse_index_base_b
; %bb.0:
	s_clause 0x2
	s_load_b64 s[12:13], s[0:1], 0x60
	s_load_b64 s[4:5], s[0:1], 0x8
	;; [unrolled: 1-line block ×3, first 2 shown]
	s_wait_kmcnt 0x0
	s_bitcmp1_b32 s13, 0
	v_dual_mov_b32 v1, s4 :: v_dual_mov_b32 v2, s5
	s_cselect_b32 s6, -1, 0
	s_delay_alu instid0(SALU_CYCLE_1)
	s_and_b32 vcc_lo, exec_lo, s6
	s_xor_b32 s6, s6, -1
	s_cbranch_vccnz .LBB15_2
; %bb.1:
	v_dual_mov_b32 v1, s4 :: v_dual_mov_b32 v2, s5
	flat_load_b64 v[1:2], v[1:2]
.LBB15_2:
	v_dual_mov_b32 v4, s3 :: v_dual_mov_b32 v3, s2
	s_and_not1_b32 vcc_lo, exec_lo, s6
	s_cbranch_vccnz .LBB15_4
; %bb.3:
	v_dual_mov_b32 v4, s3 :: v_dual_mov_b32 v3, s2
	flat_load_b64 v[3:4], v[3:4]
.LBB15_4:
	s_wait_loadcnt_dscnt 0x0
	v_cmp_neq_f64_e32 vcc_lo, 0, v[1:2]
	v_cmp_neq_f64_e64 s2, 1.0, v[3:4]
	s_or_b32 s2, vcc_lo, s2
	s_wait_alu 0xfffe
	s_and_saveexec_b32 s3, s2
	s_cbranch_execz .LBB15_27
; %bb.5:
	s_load_b64 s[2:3], s[0:1], 0x18
	s_wait_kmcnt 0x0
	s_cmp_eq_u64 s[2:3], 0
	s_cbranch_scc1 .LBB15_7
; %bb.6:
	s_mov_b32 s4, ttmp9
	s_ashr_i32 s5, ttmp9, 31
	s_wait_alu 0xfffe
	s_lshl_b64 s[4:5], s[4:5], 2
	s_wait_alu 0xfffe
	s_add_nc_u64 s[2:3], s[2:3], s[4:5]
	s_load_b32 s2, s[2:3], 0x0
	s_wait_kmcnt 0x0
	s_sub_co_i32 s22, s2, s12
	s_branch .LBB15_8
.LBB15_7:
	s_mov_b32 s22, ttmp9
.LBB15_8:
	s_load_b32 s14, s[0:1], 0x40
	v_lshrrev_b32_e32 v5, 3, v0
	s_wait_kmcnt 0x0
	s_delay_alu instid0(VALU_DEP_1)
	v_cmp_gt_i32_e32 vcc_lo, s14, v5
	s_and_b32 exec_lo, exec_lo, vcc_lo
	s_cbranch_execz .LBB15_27
; %bb.9:
	s_clause 0x3
	s_load_b256 s[4:11], s[0:1], 0x20
	s_load_b64 s[16:17], s[0:1], 0x58
	s_load_b64 s[18:19], s[0:1], 0x48
	s_load_b32 s20, s[0:1], 0x0
	v_cmp_eq_f64_e64 s0, 0, v[3:4]
	s_ashr_i32 s23, s22, 31
	v_mbcnt_lo_u32_b32 v6, -1, 0
	s_lshl_b64 s[2:3], s[22:23], 3
	v_dual_mov_b32 v8, 0 :: v_dual_and_b32 v7, 7, v0
	s_mov_b32 s13, 0
	s_delay_alu instid0(VALU_DEP_2)
	v_xor_b32_e32 v9, 4, v6
	v_xor_b32_e32 v10, 2, v6
	;; [unrolled: 1-line block ×3, first 2 shown]
	v_mul_lo_u32 v0, s14, v5
	s_mov_b32 s15, s13
	v_cmp_gt_i32_e32 vcc_lo, 32, v9
	v_mul_lo_u32 v17, s14, v7
	v_cmp_gt_u32_e64 s1, s14, v7
	s_wait_kmcnt 0x0
	s_wait_alu 0xfffe
	s_add_nc_u64 s[4:5], s[4:5], s[2:3]
	s_add_nc_u64 s[2:3], s[6:7], s[2:3]
	s_cmp_eq_u64 s[6:7], 0
	s_wait_alu 0xfffe
	s_add_nc_u64 s[6:7], s[4:5], 8
	v_cndmask_b32_e32 v9, v6, v9, vcc_lo
	s_cselect_b32 s3, s7, s3
	s_cselect_b32 s2, s6, s2
	s_load_b64 s[24:25], s[4:5], 0x0
	s_load_b64 s[26:27], s[2:3], 0x0
	v_cmp_gt_i32_e32 vcc_lo, 32, v10
	s_mul_u64 s[4:5], s[14:15], s[14:15]
	v_cmp_eq_u32_e64 s2, 7, v7
	s_cmp_lg_u32 s20, 0
	s_wait_alu 0xfffd
	v_cndmask_b32_e32 v10, v6, v10, vcc_lo
	v_cmp_gt_i32_e32 vcc_lo, 32, v11
	s_cselect_b32 s3, -1, 0
	s_wait_alu 0xfffd
	s_delay_alu instid0(VALU_DEP_2) | instskip(NEXT) | instid1(VALU_DEP_1)
	v_dual_cndmask_b32 v6, v6, v11 :: v_dual_lshlrev_b32 v19, 2, v10
	v_lshlrev_b32_e32 v20, 2, v6
	v_lshlrev_b32_e32 v18, 2, v9
	s_wait_kmcnt 0x0
	s_sub_nc_u64 s[6:7], s[24:25], s[12:13]
	v_cmp_lt_i64_e64 s15, s[24:25], s[26:27]
	s_sub_nc_u64 s[20:21], s[26:27], s[12:13]
	s_mul_i32 s26, s22, s14
	s_wait_alu 0xfffe
	s_mul_u64 s[22:23], s[6:7], s[4:5]
	s_lshl_b32 s27, s14, 3
	s_branch .LBB15_11
.LBB15_10:                              ;   in Loop: Header=BB15_11 Depth=1
	s_wait_alu 0xfffe
	s_or_b32 exec_lo, exec_lo, s24
	v_add_nc_u32_e32 v5, 8, v5
	v_add_nc_u32_e32 v0, s27, v0
	s_delay_alu instid0(VALU_DEP_2) | instskip(SKIP_1) | instid1(SALU_CYCLE_1)
	v_cmp_le_i32_e32 vcc_lo, s14, v5
	s_or_b32 s13, vcc_lo, s13
	s_and_not1_b32 exec_lo, exec_lo, s13
	s_cbranch_execz .LBB15_27
.LBB15_11:                              ; =>This Loop Header: Depth=1
                                        ;     Child Loop BB15_15 Depth 2
                                        ;       Child Loop BB15_18 Depth 3
	v_mov_b32_e32 v9, 0
	v_mov_b32_e32 v10, 0
	s_and_not1_b32 vcc_lo, exec_lo, s15
	s_wait_alu 0xfffe
	s_cbranch_vccnz .LBB15_22
; %bb.12:                               ;   in Loop: Header=BB15_11 Depth=1
	v_ashrrev_i32_e32 v6, 31, v0
	v_add_co_u32 v21, vcc_lo, s22, v0
	v_mov_b32_e32 v9, 0
	v_mov_b32_e32 v10, 0
	s_wait_alu 0xfffd
	v_add_co_ci_u32_e64 v22, null, s23, v6, vcc_lo
	v_ashrrev_i32_e32 v6, 31, v5
	s_mov_b64 s[24:25], s[6:7]
	s_branch .LBB15_15
.LBB15_13:                              ;   in Loop: Header=BB15_15 Depth=2
	s_or_b32 exec_lo, exec_lo, s29
.LBB15_14:                              ;   in Loop: Header=BB15_15 Depth=2
	s_delay_alu instid0(SALU_CYCLE_1)
	s_or_b32 exec_lo, exec_lo, s28
	s_wait_alu 0xfffe
	s_add_nc_u64 s[24:25], s[24:25], 1
	v_add_co_u32 v21, vcc_lo, v21, s4
	s_wait_alu 0xfffe
	v_cmp_ge_i64_e64 s28, s[24:25], s[20:21]
	s_wait_alu 0xfffd
	v_add_co_ci_u32_e64 v22, null, s5, v22, vcc_lo
	s_and_b32 vcc_lo, exec_lo, s28
	s_wait_alu 0xfffe
	s_cbranch_vccnz .LBB15_22
.LBB15_15:                              ;   Parent Loop BB15_11 Depth=1
                                        ; =>  This Loop Header: Depth=2
                                        ;       Child Loop BB15_18 Depth 3
	s_and_saveexec_b32 s28, s1
	s_cbranch_execz .LBB15_14
; %bb.16:                               ;   in Loop: Header=BB15_15 Depth=2
	s_wait_alu 0xfffe
	s_lshl_b64 s[30:31], s[24:25], 2
	s_wait_dscnt 0x0
	v_mad_co_u64_u32 v[11:12], null, s4, s24, v[5:6]
	s_wait_alu 0xfffe
	s_add_nc_u64 s[30:31], s[8:9], s[30:31]
	v_dual_mov_b32 v23, v17 :: v_dual_mov_b32 v14, v8
	s_load_b32 s29, s[30:31], 0x0
	s_mul_i32 s30, s5, s24
	s_mul_i32 s31, s4, s25
	v_mov_b32_e32 v13, v7
	s_wait_alu 0xfffe
	v_add3_u32 v12, s31, s30, v12
	s_wait_kmcnt 0x0
	s_sub_co_i32 s29, s29, s12
	s_delay_alu instid0(SALU_CYCLE_1)
	s_mul_i32 s30, s29, s14
	s_mov_b32 s29, 0
	s_branch .LBB15_18
.LBB15_17:                              ;   in Loop: Header=BB15_18 Depth=3
	v_add_nc_u32_e32 v24, s30, v13
	s_delay_alu instid0(VALU_DEP_2) | instskip(SKIP_1) | instid1(VALU_DEP_3)
	v_lshlrev_b64_e32 v[15:16], 3, v[15:16]
	v_add_nc_u32_e32 v23, s27, v23
	v_ashrrev_i32_e32 v25, 31, v24
	s_delay_alu instid0(VALU_DEP_3) | instskip(SKIP_1) | instid1(VALU_DEP_4)
	v_add_co_u32 v15, vcc_lo, s10, v15
	s_wait_alu 0xfffd
	v_add_co_ci_u32_e64 v16, null, s11, v16, vcc_lo
	s_delay_alu instid0(VALU_DEP_3) | instskip(NEXT) | instid1(VALU_DEP_1)
	v_lshlrev_b64_e32 v[24:25], 3, v[24:25]
	v_add_co_u32 v24, vcc_lo, s18, v24
	s_wait_alu 0xfffd
	s_delay_alu instid0(VALU_DEP_2)
	v_add_co_ci_u32_e64 v25, null, s19, v25, vcc_lo
	v_add_co_u32 v13, vcc_lo, v13, 8
	global_load_b64 v[15:16], v[15:16], off
	global_load_b64 v[24:25], v[24:25], off
	s_wait_alu 0xfffd
	v_add_co_ci_u32_e64 v14, null, 0, v14, vcc_lo
	v_cmp_le_i32_e32 vcc_lo, s14, v13
	s_or_b32 s29, vcc_lo, s29
	s_wait_loadcnt 0x0
	v_fma_f64 v[9:10], v[15:16], v[24:25], v[9:10]
	s_and_not1_b32 exec_lo, exec_lo, s29
	s_cbranch_execz .LBB15_13
.LBB15_18:                              ;   Parent Loop BB15_11 Depth=1
                                        ;     Parent Loop BB15_15 Depth=2
                                        ; =>    This Inner Loop Header: Depth=3
	s_and_b32 vcc_lo, exec_lo, s3
	s_wait_alu 0xfffe
	s_cbranch_vccz .LBB15_20
; %bb.19:                               ;   in Loop: Header=BB15_18 Depth=3
	v_ashrrev_i32_e32 v16, 31, v23
	v_add_co_u32 v15, vcc_lo, v11, v23
	s_wait_alu 0xfffd
	s_delay_alu instid0(VALU_DEP_2)
	v_add_co_ci_u32_e64 v16, null, v12, v16, vcc_lo
	s_cbranch_execnz .LBB15_17
	s_branch .LBB15_21
.LBB15_20:                              ;   in Loop: Header=BB15_18 Depth=3
                                        ; implicit-def: $vgpr15_vgpr16
.LBB15_21:                              ;   in Loop: Header=BB15_18 Depth=3
	v_add_co_u32 v15, vcc_lo, v21, v13
	s_wait_alu 0xfffd
	v_add_co_ci_u32_e64 v16, null, v22, v14, vcc_lo
	s_branch .LBB15_17
.LBB15_22:                              ;   in Loop: Header=BB15_11 Depth=1
	s_wait_dscnt 0x1
	ds_bpermute_b32 v11, v18, v9
	s_wait_dscnt 0x1
	ds_bpermute_b32 v12, v18, v10
	s_wait_dscnt 0x0
	v_add_f64_e32 v[9:10], v[9:10], v[11:12]
	ds_bpermute_b32 v11, v19, v9
	ds_bpermute_b32 v12, v19, v10
	s_wait_dscnt 0x0
	v_add_f64_e32 v[9:10], v[9:10], v[11:12]
	ds_bpermute_b32 v11, v20, v9
	ds_bpermute_b32 v12, v20, v10
	s_and_saveexec_b32 s24, s2
	s_cbranch_execz .LBB15_10
; %bb.23:                               ;   in Loop: Header=BB15_11 Depth=1
	s_wait_dscnt 0x0
	v_add_f64_e32 v[9:10], v[9:10], v[11:12]
	v_add_nc_u32_e32 v11, s26, v5
	s_delay_alu instid0(VALU_DEP_1) | instskip(NEXT) | instid1(VALU_DEP_3)
	v_ashrrev_i32_e32 v12, 31, v11
	v_mul_f64_e32 v[9:10], v[1:2], v[9:10]
	s_and_saveexec_b32 s25, s0
	s_wait_alu 0xfffe
	s_xor_b32 s25, exec_lo, s25
	s_cbranch_execz .LBB15_25
; %bb.24:                               ;   in Loop: Header=BB15_11 Depth=1
	v_lshlrev_b64_e32 v[11:12], 3, v[11:12]
	s_delay_alu instid0(VALU_DEP_1) | instskip(SKIP_1) | instid1(VALU_DEP_2)
	v_add_co_u32 v11, vcc_lo, s16, v11
	s_wait_alu 0xfffd
	v_add_co_ci_u32_e64 v12, null, s17, v12, vcc_lo
	global_store_b64 v[11:12], v[9:10], off
                                        ; implicit-def: $vgpr11
                                        ; implicit-def: $vgpr9_vgpr10
.LBB15_25:                              ;   in Loop: Header=BB15_11 Depth=1
	s_wait_alu 0xfffe
	s_and_not1_saveexec_b32 s25, s25
	s_cbranch_execz .LBB15_10
; %bb.26:                               ;   in Loop: Header=BB15_11 Depth=1
	v_lshlrev_b64_e32 v[11:12], 3, v[11:12]
	s_delay_alu instid0(VALU_DEP_1) | instskip(SKIP_1) | instid1(VALU_DEP_2)
	v_add_co_u32 v11, vcc_lo, s16, v11
	s_wait_alu 0xfffd
	v_add_co_ci_u32_e64 v12, null, s17, v12, vcc_lo
	global_load_b64 v[13:14], v[11:12], off
	s_wait_loadcnt 0x0
	v_fma_f64 v[9:10], v[3:4], v[13:14], v[9:10]
	global_store_b64 v[11:12], v[9:10], off
	s_branch .LBB15_10
.LBB15_27:
	s_endpgm
	.section	.rodata,"a",@progbits
	.p2align	6, 0x0
	.amdhsa_kernel _ZN9rocsparseL22bsrxmvn_general_kernelILj64ELj8EdlidddEEv20rocsparse_direction_NS_24const_host_device_scalarIT1_EET3_PKS5_PKT2_SA_S7_PKT4_S5_PKT5_S4_PT6_21rocsparse_index_base_b
		.amdhsa_group_segment_fixed_size 0
		.amdhsa_private_segment_fixed_size 0
		.amdhsa_kernarg_size 104
		.amdhsa_user_sgpr_count 2
		.amdhsa_user_sgpr_dispatch_ptr 0
		.amdhsa_user_sgpr_queue_ptr 0
		.amdhsa_user_sgpr_kernarg_segment_ptr 1
		.amdhsa_user_sgpr_dispatch_id 0
		.amdhsa_user_sgpr_private_segment_size 0
		.amdhsa_wavefront_size32 1
		.amdhsa_uses_dynamic_stack 0
		.amdhsa_enable_private_segment 0
		.amdhsa_system_sgpr_workgroup_id_x 1
		.amdhsa_system_sgpr_workgroup_id_y 0
		.amdhsa_system_sgpr_workgroup_id_z 0
		.amdhsa_system_sgpr_workgroup_info 0
		.amdhsa_system_vgpr_workitem_id 0
		.amdhsa_next_free_vgpr 26
		.amdhsa_next_free_sgpr 32
		.amdhsa_reserve_vcc 1
		.amdhsa_float_round_mode_32 0
		.amdhsa_float_round_mode_16_64 0
		.amdhsa_float_denorm_mode_32 3
		.amdhsa_float_denorm_mode_16_64 3
		.amdhsa_fp16_overflow 0
		.amdhsa_workgroup_processor_mode 1
		.amdhsa_memory_ordered 1
		.amdhsa_forward_progress 1
		.amdhsa_inst_pref_size 10
		.amdhsa_round_robin_scheduling 0
		.amdhsa_exception_fp_ieee_invalid_op 0
		.amdhsa_exception_fp_denorm_src 0
		.amdhsa_exception_fp_ieee_div_zero 0
		.amdhsa_exception_fp_ieee_overflow 0
		.amdhsa_exception_fp_ieee_underflow 0
		.amdhsa_exception_fp_ieee_inexact 0
		.amdhsa_exception_int_div_zero 0
	.end_amdhsa_kernel
	.section	.text._ZN9rocsparseL22bsrxmvn_general_kernelILj64ELj8EdlidddEEv20rocsparse_direction_NS_24const_host_device_scalarIT1_EET3_PKS5_PKT2_SA_S7_PKT4_S5_PKT5_S4_PT6_21rocsparse_index_base_b,"axG",@progbits,_ZN9rocsparseL22bsrxmvn_general_kernelILj64ELj8EdlidddEEv20rocsparse_direction_NS_24const_host_device_scalarIT1_EET3_PKS5_PKT2_SA_S7_PKT4_S5_PKT5_S4_PT6_21rocsparse_index_base_b,comdat
.Lfunc_end15:
	.size	_ZN9rocsparseL22bsrxmvn_general_kernelILj64ELj8EdlidddEEv20rocsparse_direction_NS_24const_host_device_scalarIT1_EET3_PKS5_PKT2_SA_S7_PKT4_S5_PKT5_S4_PT6_21rocsparse_index_base_b, .Lfunc_end15-_ZN9rocsparseL22bsrxmvn_general_kernelILj64ELj8EdlidddEEv20rocsparse_direction_NS_24const_host_device_scalarIT1_EET3_PKS5_PKT2_SA_S7_PKT4_S5_PKT5_S4_PT6_21rocsparse_index_base_b
                                        ; -- End function
	.set _ZN9rocsparseL22bsrxmvn_general_kernelILj64ELj8EdlidddEEv20rocsparse_direction_NS_24const_host_device_scalarIT1_EET3_PKS5_PKT2_SA_S7_PKT4_S5_PKT5_S4_PT6_21rocsparse_index_base_b.num_vgpr, 26
	.set _ZN9rocsparseL22bsrxmvn_general_kernelILj64ELj8EdlidddEEv20rocsparse_direction_NS_24const_host_device_scalarIT1_EET3_PKS5_PKT2_SA_S7_PKT4_S5_PKT5_S4_PT6_21rocsparse_index_base_b.num_agpr, 0
	.set _ZN9rocsparseL22bsrxmvn_general_kernelILj64ELj8EdlidddEEv20rocsparse_direction_NS_24const_host_device_scalarIT1_EET3_PKS5_PKT2_SA_S7_PKT4_S5_PKT5_S4_PT6_21rocsparse_index_base_b.numbered_sgpr, 32
	.set _ZN9rocsparseL22bsrxmvn_general_kernelILj64ELj8EdlidddEEv20rocsparse_direction_NS_24const_host_device_scalarIT1_EET3_PKS5_PKT2_SA_S7_PKT4_S5_PKT5_S4_PT6_21rocsparse_index_base_b.num_named_barrier, 0
	.set _ZN9rocsparseL22bsrxmvn_general_kernelILj64ELj8EdlidddEEv20rocsparse_direction_NS_24const_host_device_scalarIT1_EET3_PKS5_PKT2_SA_S7_PKT4_S5_PKT5_S4_PT6_21rocsparse_index_base_b.private_seg_size, 0
	.set _ZN9rocsparseL22bsrxmvn_general_kernelILj64ELj8EdlidddEEv20rocsparse_direction_NS_24const_host_device_scalarIT1_EET3_PKS5_PKT2_SA_S7_PKT4_S5_PKT5_S4_PT6_21rocsparse_index_base_b.uses_vcc, 1
	.set _ZN9rocsparseL22bsrxmvn_general_kernelILj64ELj8EdlidddEEv20rocsparse_direction_NS_24const_host_device_scalarIT1_EET3_PKS5_PKT2_SA_S7_PKT4_S5_PKT5_S4_PT6_21rocsparse_index_base_b.uses_flat_scratch, 0
	.set _ZN9rocsparseL22bsrxmvn_general_kernelILj64ELj8EdlidddEEv20rocsparse_direction_NS_24const_host_device_scalarIT1_EET3_PKS5_PKT2_SA_S7_PKT4_S5_PKT5_S4_PT6_21rocsparse_index_base_b.has_dyn_sized_stack, 0
	.set _ZN9rocsparseL22bsrxmvn_general_kernelILj64ELj8EdlidddEEv20rocsparse_direction_NS_24const_host_device_scalarIT1_EET3_PKS5_PKT2_SA_S7_PKT4_S5_PKT5_S4_PT6_21rocsparse_index_base_b.has_recursion, 0
	.set _ZN9rocsparseL22bsrxmvn_general_kernelILj64ELj8EdlidddEEv20rocsparse_direction_NS_24const_host_device_scalarIT1_EET3_PKS5_PKT2_SA_S7_PKT4_S5_PKT5_S4_PT6_21rocsparse_index_base_b.has_indirect_call, 0
	.section	.AMDGPU.csdata,"",@progbits
; Kernel info:
; codeLenInByte = 1256
; TotalNumSgprs: 34
; NumVgprs: 26
; ScratchSize: 0
; MemoryBound: 0
; FloatMode: 240
; IeeeMode: 1
; LDSByteSize: 0 bytes/workgroup (compile time only)
; SGPRBlocks: 0
; VGPRBlocks: 3
; NumSGPRsForWavesPerEU: 34
; NumVGPRsForWavesPerEU: 26
; Occupancy: 16
; WaveLimiterHint : 1
; COMPUTE_PGM_RSRC2:SCRATCH_EN: 0
; COMPUTE_PGM_RSRC2:USER_SGPR: 2
; COMPUTE_PGM_RSRC2:TRAP_HANDLER: 0
; COMPUTE_PGM_RSRC2:TGID_X_EN: 1
; COMPUTE_PGM_RSRC2:TGID_Y_EN: 0
; COMPUTE_PGM_RSRC2:TGID_Z_EN: 0
; COMPUTE_PGM_RSRC2:TIDIG_COMP_CNT: 0
	.section	.text._ZN9rocsparseL22bsrxmvn_general_kernelILj256ELj16EdlidddEEv20rocsparse_direction_NS_24const_host_device_scalarIT1_EET3_PKS5_PKT2_SA_S7_PKT4_S5_PKT5_S4_PT6_21rocsparse_index_base_b,"axG",@progbits,_ZN9rocsparseL22bsrxmvn_general_kernelILj256ELj16EdlidddEEv20rocsparse_direction_NS_24const_host_device_scalarIT1_EET3_PKS5_PKT2_SA_S7_PKT4_S5_PKT5_S4_PT6_21rocsparse_index_base_b,comdat
	.globl	_ZN9rocsparseL22bsrxmvn_general_kernelILj256ELj16EdlidddEEv20rocsparse_direction_NS_24const_host_device_scalarIT1_EET3_PKS5_PKT2_SA_S7_PKT4_S5_PKT5_S4_PT6_21rocsparse_index_base_b ; -- Begin function _ZN9rocsparseL22bsrxmvn_general_kernelILj256ELj16EdlidddEEv20rocsparse_direction_NS_24const_host_device_scalarIT1_EET3_PKS5_PKT2_SA_S7_PKT4_S5_PKT5_S4_PT6_21rocsparse_index_base_b
	.p2align	8
	.type	_ZN9rocsparseL22bsrxmvn_general_kernelILj256ELj16EdlidddEEv20rocsparse_direction_NS_24const_host_device_scalarIT1_EET3_PKS5_PKT2_SA_S7_PKT4_S5_PKT5_S4_PT6_21rocsparse_index_base_b,@function
_ZN9rocsparseL22bsrxmvn_general_kernelILj256ELj16EdlidddEEv20rocsparse_direction_NS_24const_host_device_scalarIT1_EET3_PKS5_PKT2_SA_S7_PKT4_S5_PKT5_S4_PT6_21rocsparse_index_base_b: ; @_ZN9rocsparseL22bsrxmvn_general_kernelILj256ELj16EdlidddEEv20rocsparse_direction_NS_24const_host_device_scalarIT1_EET3_PKS5_PKT2_SA_S7_PKT4_S5_PKT5_S4_PT6_21rocsparse_index_base_b
; %bb.0:
	s_clause 0x2
	s_load_b64 s[12:13], s[0:1], 0x60
	s_load_b64 s[4:5], s[0:1], 0x8
	;; [unrolled: 1-line block ×3, first 2 shown]
	s_wait_kmcnt 0x0
	s_bitcmp1_b32 s13, 0
	v_dual_mov_b32 v1, s4 :: v_dual_mov_b32 v2, s5
	s_cselect_b32 s6, -1, 0
	s_delay_alu instid0(SALU_CYCLE_1)
	s_and_b32 vcc_lo, exec_lo, s6
	s_xor_b32 s6, s6, -1
	s_cbranch_vccnz .LBB16_2
; %bb.1:
	v_dual_mov_b32 v1, s4 :: v_dual_mov_b32 v2, s5
	flat_load_b64 v[1:2], v[1:2]
.LBB16_2:
	v_dual_mov_b32 v4, s3 :: v_dual_mov_b32 v3, s2
	s_and_not1_b32 vcc_lo, exec_lo, s6
	s_cbranch_vccnz .LBB16_4
; %bb.3:
	v_dual_mov_b32 v4, s3 :: v_dual_mov_b32 v3, s2
	flat_load_b64 v[3:4], v[3:4]
.LBB16_4:
	s_wait_loadcnt_dscnt 0x0
	v_cmp_neq_f64_e32 vcc_lo, 0, v[1:2]
	v_cmp_neq_f64_e64 s2, 1.0, v[3:4]
	s_or_b32 s2, vcc_lo, s2
	s_wait_alu 0xfffe
	s_and_saveexec_b32 s3, s2
	s_cbranch_execz .LBB16_27
; %bb.5:
	s_load_b64 s[2:3], s[0:1], 0x18
	s_wait_kmcnt 0x0
	s_cmp_eq_u64 s[2:3], 0
	s_cbranch_scc1 .LBB16_7
; %bb.6:
	s_mov_b32 s4, ttmp9
	s_ashr_i32 s5, ttmp9, 31
	s_wait_alu 0xfffe
	s_lshl_b64 s[4:5], s[4:5], 2
	s_wait_alu 0xfffe
	s_add_nc_u64 s[2:3], s[2:3], s[4:5]
	s_load_b32 s2, s[2:3], 0x0
	s_wait_kmcnt 0x0
	s_sub_co_i32 s22, s2, s12
	s_branch .LBB16_8
.LBB16_7:
	s_mov_b32 s22, ttmp9
.LBB16_8:
	s_load_b32 s14, s[0:1], 0x40
	v_lshrrev_b32_e32 v5, 4, v0
	s_wait_kmcnt 0x0
	s_delay_alu instid0(VALU_DEP_1)
	v_cmp_gt_i32_e32 vcc_lo, s14, v5
	s_and_b32 exec_lo, exec_lo, vcc_lo
	s_cbranch_execz .LBB16_27
; %bb.9:
	s_clause 0x2
	s_load_b256 s[4:11], s[0:1], 0x20
	s_load_b64 s[16:17], s[0:1], 0x58
	s_load_b64 s[18:19], s[0:1], 0x48
	v_mbcnt_lo_u32_b32 v6, -1, 0
	s_load_b32 s28, s[0:1], 0x0
	v_cmp_eq_f64_e64 s0, 0, v[3:4]
	s_ashr_i32 s23, s22, 31
	v_dual_mov_b32 v8, 0 :: v_dual_and_b32 v7, 15, v0
	v_xor_b32_e32 v9, 8, v6
	s_lshl_b64 s[2:3], s[22:23], 3
	v_xor_b32_e32 v10, 4, v6
	v_xor_b32_e32 v11, 2, v6
	;; [unrolled: 1-line block ×3, first 2 shown]
	v_cmp_gt_i32_e32 vcc_lo, 32, v9
	s_mov_b32 s13, 0
	v_mul_lo_u32 v0, s14, v5
	s_mov_b32 s15, s13
	v_mul_lo_u32 v17, s14, v7
	v_cndmask_b32_e32 v9, v6, v9, vcc_lo
	s_wait_kmcnt 0x0
	s_wait_alu 0xfffe
	s_add_nc_u64 s[4:5], s[4:5], s[2:3]
	s_add_nc_u64 s[2:3], s[6:7], s[2:3]
	s_cmp_eq_u64 s[6:7], 0
	s_wait_alu 0xfffe
	s_add_nc_u64 s[6:7], s[4:5], 8
	v_cmp_gt_i32_e32 vcc_lo, 32, v10
	s_cselect_b32 s3, s7, s3
	s_cselect_b32 s2, s6, s2
	s_load_b64 s[24:25], s[4:5], 0x0
	s_load_b64 s[26:27], s[2:3], 0x0
	s_mul_u64 s[20:21], s[14:15], s[14:15]
	v_cndmask_b32_e32 v10, v6, v10, vcc_lo
	v_cmp_gt_i32_e32 vcc_lo, 32, v11
	v_cmp_gt_u32_e64 s1, s14, v7
	v_cmp_eq_u32_e64 s2, 15, v7
	s_cmp_lg_u32 s28, 0
	v_lshlrev_b32_e32 v19, 2, v10
	s_wait_alu 0xfffd
	v_cndmask_b32_e32 v11, v6, v11, vcc_lo
	v_cmp_gt_i32_e32 vcc_lo, 32, v12
	s_cselect_b32 s3, -1, 0
	s_delay_alu instid0(VALU_DEP_2) | instskip(SKIP_3) | instid1(VALU_DEP_2)
	v_lshlrev_b32_e32 v20, 2, v11
	s_wait_alu 0xfffd
	v_cndmask_b32_e32 v6, v6, v12, vcc_lo
	v_lshlrev_b32_e32 v18, 2, v9
	v_lshlrev_b32_e32 v21, 2, v6
	s_wait_kmcnt 0x0
	v_cmp_lt_i64_e64 s15, s[24:25], s[26:27]
	s_sub_nc_u64 s[4:5], s[24:25], s[12:13]
	s_sub_nc_u64 s[6:7], s[26:27], s[12:13]
	s_mul_i32 s26, s22, s14
	s_wait_alu 0xfffe
	s_mul_u64 s[22:23], s[4:5], s[20:21]
	s_lshl_b32 s27, s14, 4
	s_branch .LBB16_11
.LBB16_10:                              ;   in Loop: Header=BB16_11 Depth=1
	s_wait_alu 0xfffe
	s_or_b32 exec_lo, exec_lo, s24
	v_add_nc_u32_e32 v5, 16, v5
	v_add_nc_u32_e32 v0, s27, v0
	s_delay_alu instid0(VALU_DEP_2) | instskip(SKIP_1) | instid1(SALU_CYCLE_1)
	v_cmp_le_i32_e32 vcc_lo, s14, v5
	s_or_b32 s13, vcc_lo, s13
	s_and_not1_b32 exec_lo, exec_lo, s13
	s_cbranch_execz .LBB16_27
.LBB16_11:                              ; =>This Loop Header: Depth=1
                                        ;     Child Loop BB16_15 Depth 2
                                        ;       Child Loop BB16_18 Depth 3
	v_mov_b32_e32 v9, 0
	v_mov_b32_e32 v10, 0
	s_and_not1_b32 vcc_lo, exec_lo, s15
	s_wait_alu 0xfffe
	s_cbranch_vccnz .LBB16_22
; %bb.12:                               ;   in Loop: Header=BB16_11 Depth=1
	v_ashrrev_i32_e32 v6, 31, v0
	v_add_co_u32 v22, vcc_lo, s22, v0
	v_mov_b32_e32 v9, 0
	v_mov_b32_e32 v10, 0
	s_wait_alu 0xfffd
	v_add_co_ci_u32_e64 v23, null, s23, v6, vcc_lo
	v_ashrrev_i32_e32 v6, 31, v5
	s_mov_b64 s[24:25], s[4:5]
	s_branch .LBB16_15
.LBB16_13:                              ;   in Loop: Header=BB16_15 Depth=2
	s_or_b32 exec_lo, exec_lo, s29
.LBB16_14:                              ;   in Loop: Header=BB16_15 Depth=2
	s_delay_alu instid0(SALU_CYCLE_1)
	s_or_b32 exec_lo, exec_lo, s28
	s_wait_alu 0xfffe
	s_add_nc_u64 s[24:25], s[24:25], 1
	v_add_co_u32 v22, vcc_lo, v22, s20
	s_wait_alu 0xfffe
	v_cmp_ge_i64_e64 s28, s[24:25], s[6:7]
	s_wait_alu 0xfffd
	v_add_co_ci_u32_e64 v23, null, s21, v23, vcc_lo
	s_and_b32 vcc_lo, exec_lo, s28
	s_wait_alu 0xfffe
	s_cbranch_vccnz .LBB16_22
.LBB16_15:                              ;   Parent Loop BB16_11 Depth=1
                                        ; =>  This Loop Header: Depth=2
                                        ;       Child Loop BB16_18 Depth 3
	s_and_saveexec_b32 s28, s1
	s_cbranch_execz .LBB16_14
; %bb.16:                               ;   in Loop: Header=BB16_15 Depth=2
	s_wait_alu 0xfffe
	s_lshl_b64 s[30:31], s[24:25], 2
	s_wait_dscnt 0x0
	v_mad_co_u64_u32 v[11:12], null, s20, s24, v[5:6]
	s_wait_alu 0xfffe
	s_add_nc_u64 s[30:31], s[8:9], s[30:31]
	v_mov_b32_e32 v14, v8
	s_load_b32 s29, s[30:31], 0x0
	s_mul_i32 s30, s21, s24
	s_mul_i32 s31, s20, s25
	v_dual_mov_b32 v24, v17 :: v_dual_mov_b32 v13, v7
	s_wait_alu 0xfffe
	v_add3_u32 v12, s31, s30, v12
	s_wait_kmcnt 0x0
	s_sub_co_i32 s29, s29, s12
	s_delay_alu instid0(SALU_CYCLE_1)
	s_mul_i32 s30, s29, s14
	s_mov_b32 s29, 0
	s_branch .LBB16_18
.LBB16_17:                              ;   in Loop: Header=BB16_18 Depth=3
	v_add_nc_u32_e32 v25, s30, v13
	s_delay_alu instid0(VALU_DEP_2) | instskip(SKIP_1) | instid1(VALU_DEP_3)
	v_lshlrev_b64_e32 v[15:16], 3, v[15:16]
	v_add_nc_u32_e32 v24, s27, v24
	v_ashrrev_i32_e32 v26, 31, v25
	s_delay_alu instid0(VALU_DEP_3) | instskip(SKIP_1) | instid1(VALU_DEP_4)
	v_add_co_u32 v15, vcc_lo, s10, v15
	s_wait_alu 0xfffd
	v_add_co_ci_u32_e64 v16, null, s11, v16, vcc_lo
	s_delay_alu instid0(VALU_DEP_3) | instskip(NEXT) | instid1(VALU_DEP_1)
	v_lshlrev_b64_e32 v[25:26], 3, v[25:26]
	v_add_co_u32 v25, vcc_lo, s18, v25
	s_wait_alu 0xfffd
	s_delay_alu instid0(VALU_DEP_2)
	v_add_co_ci_u32_e64 v26, null, s19, v26, vcc_lo
	v_add_co_u32 v13, vcc_lo, v13, 16
	global_load_b64 v[15:16], v[15:16], off
	global_load_b64 v[25:26], v[25:26], off
	s_wait_alu 0xfffd
	v_add_co_ci_u32_e64 v14, null, 0, v14, vcc_lo
	v_cmp_le_i32_e32 vcc_lo, s14, v13
	s_or_b32 s29, vcc_lo, s29
	s_wait_loadcnt 0x0
	v_fma_f64 v[9:10], v[15:16], v[25:26], v[9:10]
	s_and_not1_b32 exec_lo, exec_lo, s29
	s_cbranch_execz .LBB16_13
.LBB16_18:                              ;   Parent Loop BB16_11 Depth=1
                                        ;     Parent Loop BB16_15 Depth=2
                                        ; =>    This Inner Loop Header: Depth=3
	s_and_b32 vcc_lo, exec_lo, s3
	s_wait_alu 0xfffe
	s_cbranch_vccz .LBB16_20
; %bb.19:                               ;   in Loop: Header=BB16_18 Depth=3
	v_ashrrev_i32_e32 v16, 31, v24
	v_add_co_u32 v15, vcc_lo, v11, v24
	s_wait_alu 0xfffd
	s_delay_alu instid0(VALU_DEP_2)
	v_add_co_ci_u32_e64 v16, null, v12, v16, vcc_lo
	s_cbranch_execnz .LBB16_17
	s_branch .LBB16_21
.LBB16_20:                              ;   in Loop: Header=BB16_18 Depth=3
                                        ; implicit-def: $vgpr15_vgpr16
.LBB16_21:                              ;   in Loop: Header=BB16_18 Depth=3
	v_add_co_u32 v15, vcc_lo, v22, v13
	s_wait_alu 0xfffd
	v_add_co_ci_u32_e64 v16, null, v23, v14, vcc_lo
	s_branch .LBB16_17
.LBB16_22:                              ;   in Loop: Header=BB16_11 Depth=1
	s_wait_dscnt 0x1
	ds_bpermute_b32 v11, v18, v9
	s_wait_dscnt 0x1
	ds_bpermute_b32 v12, v18, v10
	s_wait_dscnt 0x0
	v_add_f64_e32 v[9:10], v[9:10], v[11:12]
	ds_bpermute_b32 v11, v19, v9
	ds_bpermute_b32 v12, v19, v10
	s_wait_dscnt 0x0
	v_add_f64_e32 v[9:10], v[9:10], v[11:12]
	ds_bpermute_b32 v11, v20, v9
	;; [unrolled: 4-line block ×3, first 2 shown]
	ds_bpermute_b32 v12, v21, v10
	s_and_saveexec_b32 s24, s2
	s_cbranch_execz .LBB16_10
; %bb.23:                               ;   in Loop: Header=BB16_11 Depth=1
	s_wait_dscnt 0x0
	v_add_f64_e32 v[9:10], v[9:10], v[11:12]
	v_add_nc_u32_e32 v11, s26, v5
	s_delay_alu instid0(VALU_DEP_1) | instskip(NEXT) | instid1(VALU_DEP_3)
	v_ashrrev_i32_e32 v12, 31, v11
	v_mul_f64_e32 v[9:10], v[1:2], v[9:10]
	s_and_saveexec_b32 s25, s0
	s_wait_alu 0xfffe
	s_xor_b32 s25, exec_lo, s25
	s_cbranch_execz .LBB16_25
; %bb.24:                               ;   in Loop: Header=BB16_11 Depth=1
	v_lshlrev_b64_e32 v[11:12], 3, v[11:12]
	s_delay_alu instid0(VALU_DEP_1) | instskip(SKIP_1) | instid1(VALU_DEP_2)
	v_add_co_u32 v11, vcc_lo, s16, v11
	s_wait_alu 0xfffd
	v_add_co_ci_u32_e64 v12, null, s17, v12, vcc_lo
	global_store_b64 v[11:12], v[9:10], off
                                        ; implicit-def: $vgpr11
                                        ; implicit-def: $vgpr9_vgpr10
.LBB16_25:                              ;   in Loop: Header=BB16_11 Depth=1
	s_wait_alu 0xfffe
	s_and_not1_saveexec_b32 s25, s25
	s_cbranch_execz .LBB16_10
; %bb.26:                               ;   in Loop: Header=BB16_11 Depth=1
	v_lshlrev_b64_e32 v[11:12], 3, v[11:12]
	s_delay_alu instid0(VALU_DEP_1) | instskip(SKIP_1) | instid1(VALU_DEP_2)
	v_add_co_u32 v11, vcc_lo, s16, v11
	s_wait_alu 0xfffd
	v_add_co_ci_u32_e64 v12, null, s17, v12, vcc_lo
	global_load_b64 v[13:14], v[11:12], off
	s_wait_loadcnt 0x0
	v_fma_f64 v[9:10], v[3:4], v[13:14], v[9:10]
	global_store_b64 v[11:12], v[9:10], off
	s_branch .LBB16_10
.LBB16_27:
	s_endpgm
	.section	.rodata,"a",@progbits
	.p2align	6, 0x0
	.amdhsa_kernel _ZN9rocsparseL22bsrxmvn_general_kernelILj256ELj16EdlidddEEv20rocsparse_direction_NS_24const_host_device_scalarIT1_EET3_PKS5_PKT2_SA_S7_PKT4_S5_PKT5_S4_PT6_21rocsparse_index_base_b
		.amdhsa_group_segment_fixed_size 0
		.amdhsa_private_segment_fixed_size 0
		.amdhsa_kernarg_size 104
		.amdhsa_user_sgpr_count 2
		.amdhsa_user_sgpr_dispatch_ptr 0
		.amdhsa_user_sgpr_queue_ptr 0
		.amdhsa_user_sgpr_kernarg_segment_ptr 1
		.amdhsa_user_sgpr_dispatch_id 0
		.amdhsa_user_sgpr_private_segment_size 0
		.amdhsa_wavefront_size32 1
		.amdhsa_uses_dynamic_stack 0
		.amdhsa_enable_private_segment 0
		.amdhsa_system_sgpr_workgroup_id_x 1
		.amdhsa_system_sgpr_workgroup_id_y 0
		.amdhsa_system_sgpr_workgroup_id_z 0
		.amdhsa_system_sgpr_workgroup_info 0
		.amdhsa_system_vgpr_workitem_id 0
		.amdhsa_next_free_vgpr 27
		.amdhsa_next_free_sgpr 32
		.amdhsa_reserve_vcc 1
		.amdhsa_float_round_mode_32 0
		.amdhsa_float_round_mode_16_64 0
		.amdhsa_float_denorm_mode_32 3
		.amdhsa_float_denorm_mode_16_64 3
		.amdhsa_fp16_overflow 0
		.amdhsa_workgroup_processor_mode 1
		.amdhsa_memory_ordered 1
		.amdhsa_forward_progress 1
		.amdhsa_inst_pref_size 11
		.amdhsa_round_robin_scheduling 0
		.amdhsa_exception_fp_ieee_invalid_op 0
		.amdhsa_exception_fp_denorm_src 0
		.amdhsa_exception_fp_ieee_div_zero 0
		.amdhsa_exception_fp_ieee_overflow 0
		.amdhsa_exception_fp_ieee_underflow 0
		.amdhsa_exception_fp_ieee_inexact 0
		.amdhsa_exception_int_div_zero 0
	.end_amdhsa_kernel
	.section	.text._ZN9rocsparseL22bsrxmvn_general_kernelILj256ELj16EdlidddEEv20rocsparse_direction_NS_24const_host_device_scalarIT1_EET3_PKS5_PKT2_SA_S7_PKT4_S5_PKT5_S4_PT6_21rocsparse_index_base_b,"axG",@progbits,_ZN9rocsparseL22bsrxmvn_general_kernelILj256ELj16EdlidddEEv20rocsparse_direction_NS_24const_host_device_scalarIT1_EET3_PKS5_PKT2_SA_S7_PKT4_S5_PKT5_S4_PT6_21rocsparse_index_base_b,comdat
.Lfunc_end16:
	.size	_ZN9rocsparseL22bsrxmvn_general_kernelILj256ELj16EdlidddEEv20rocsparse_direction_NS_24const_host_device_scalarIT1_EET3_PKS5_PKT2_SA_S7_PKT4_S5_PKT5_S4_PT6_21rocsparse_index_base_b, .Lfunc_end16-_ZN9rocsparseL22bsrxmvn_general_kernelILj256ELj16EdlidddEEv20rocsparse_direction_NS_24const_host_device_scalarIT1_EET3_PKS5_PKT2_SA_S7_PKT4_S5_PKT5_S4_PT6_21rocsparse_index_base_b
                                        ; -- End function
	.set _ZN9rocsparseL22bsrxmvn_general_kernelILj256ELj16EdlidddEEv20rocsparse_direction_NS_24const_host_device_scalarIT1_EET3_PKS5_PKT2_SA_S7_PKT4_S5_PKT5_S4_PT6_21rocsparse_index_base_b.num_vgpr, 27
	.set _ZN9rocsparseL22bsrxmvn_general_kernelILj256ELj16EdlidddEEv20rocsparse_direction_NS_24const_host_device_scalarIT1_EET3_PKS5_PKT2_SA_S7_PKT4_S5_PKT5_S4_PT6_21rocsparse_index_base_b.num_agpr, 0
	.set _ZN9rocsparseL22bsrxmvn_general_kernelILj256ELj16EdlidddEEv20rocsparse_direction_NS_24const_host_device_scalarIT1_EET3_PKS5_PKT2_SA_S7_PKT4_S5_PKT5_S4_PT6_21rocsparse_index_base_b.numbered_sgpr, 32
	.set _ZN9rocsparseL22bsrxmvn_general_kernelILj256ELj16EdlidddEEv20rocsparse_direction_NS_24const_host_device_scalarIT1_EET3_PKS5_PKT2_SA_S7_PKT4_S5_PKT5_S4_PT6_21rocsparse_index_base_b.num_named_barrier, 0
	.set _ZN9rocsparseL22bsrxmvn_general_kernelILj256ELj16EdlidddEEv20rocsparse_direction_NS_24const_host_device_scalarIT1_EET3_PKS5_PKT2_SA_S7_PKT4_S5_PKT5_S4_PT6_21rocsparse_index_base_b.private_seg_size, 0
	.set _ZN9rocsparseL22bsrxmvn_general_kernelILj256ELj16EdlidddEEv20rocsparse_direction_NS_24const_host_device_scalarIT1_EET3_PKS5_PKT2_SA_S7_PKT4_S5_PKT5_S4_PT6_21rocsparse_index_base_b.uses_vcc, 1
	.set _ZN9rocsparseL22bsrxmvn_general_kernelILj256ELj16EdlidddEEv20rocsparse_direction_NS_24const_host_device_scalarIT1_EET3_PKS5_PKT2_SA_S7_PKT4_S5_PKT5_S4_PT6_21rocsparse_index_base_b.uses_flat_scratch, 0
	.set _ZN9rocsparseL22bsrxmvn_general_kernelILj256ELj16EdlidddEEv20rocsparse_direction_NS_24const_host_device_scalarIT1_EET3_PKS5_PKT2_SA_S7_PKT4_S5_PKT5_S4_PT6_21rocsparse_index_base_b.has_dyn_sized_stack, 0
	.set _ZN9rocsparseL22bsrxmvn_general_kernelILj256ELj16EdlidddEEv20rocsparse_direction_NS_24const_host_device_scalarIT1_EET3_PKS5_PKT2_SA_S7_PKT4_S5_PKT5_S4_PT6_21rocsparse_index_base_b.has_recursion, 0
	.set _ZN9rocsparseL22bsrxmvn_general_kernelILj256ELj16EdlidddEEv20rocsparse_direction_NS_24const_host_device_scalarIT1_EET3_PKS5_PKT2_SA_S7_PKT4_S5_PKT5_S4_PT6_21rocsparse_index_base_b.has_indirect_call, 0
	.section	.AMDGPU.csdata,"",@progbits
; Kernel info:
; codeLenInByte = 1292
; TotalNumSgprs: 34
; NumVgprs: 27
; ScratchSize: 0
; MemoryBound: 0
; FloatMode: 240
; IeeeMode: 1
; LDSByteSize: 0 bytes/workgroup (compile time only)
; SGPRBlocks: 0
; VGPRBlocks: 3
; NumSGPRsForWavesPerEU: 34
; NumVGPRsForWavesPerEU: 27
; Occupancy: 16
; WaveLimiterHint : 1
; COMPUTE_PGM_RSRC2:SCRATCH_EN: 0
; COMPUTE_PGM_RSRC2:USER_SGPR: 2
; COMPUTE_PGM_RSRC2:TRAP_HANDLER: 0
; COMPUTE_PGM_RSRC2:TGID_X_EN: 1
; COMPUTE_PGM_RSRC2:TGID_Y_EN: 0
; COMPUTE_PGM_RSRC2:TGID_Z_EN: 0
; COMPUTE_PGM_RSRC2:TIDIG_COMP_CNT: 0
	.section	.text._ZN9rocsparseL22bsrxmvn_general_kernelILj1024ELj32EdlidddEEv20rocsparse_direction_NS_24const_host_device_scalarIT1_EET3_PKS5_PKT2_SA_S7_PKT4_S5_PKT5_S4_PT6_21rocsparse_index_base_b,"axG",@progbits,_ZN9rocsparseL22bsrxmvn_general_kernelILj1024ELj32EdlidddEEv20rocsparse_direction_NS_24const_host_device_scalarIT1_EET3_PKS5_PKT2_SA_S7_PKT4_S5_PKT5_S4_PT6_21rocsparse_index_base_b,comdat
	.globl	_ZN9rocsparseL22bsrxmvn_general_kernelILj1024ELj32EdlidddEEv20rocsparse_direction_NS_24const_host_device_scalarIT1_EET3_PKS5_PKT2_SA_S7_PKT4_S5_PKT5_S4_PT6_21rocsparse_index_base_b ; -- Begin function _ZN9rocsparseL22bsrxmvn_general_kernelILj1024ELj32EdlidddEEv20rocsparse_direction_NS_24const_host_device_scalarIT1_EET3_PKS5_PKT2_SA_S7_PKT4_S5_PKT5_S4_PT6_21rocsparse_index_base_b
	.p2align	8
	.type	_ZN9rocsparseL22bsrxmvn_general_kernelILj1024ELj32EdlidddEEv20rocsparse_direction_NS_24const_host_device_scalarIT1_EET3_PKS5_PKT2_SA_S7_PKT4_S5_PKT5_S4_PT6_21rocsparse_index_base_b,@function
_ZN9rocsparseL22bsrxmvn_general_kernelILj1024ELj32EdlidddEEv20rocsparse_direction_NS_24const_host_device_scalarIT1_EET3_PKS5_PKT2_SA_S7_PKT4_S5_PKT5_S4_PT6_21rocsparse_index_base_b: ; @_ZN9rocsparseL22bsrxmvn_general_kernelILj1024ELj32EdlidddEEv20rocsparse_direction_NS_24const_host_device_scalarIT1_EET3_PKS5_PKT2_SA_S7_PKT4_S5_PKT5_S4_PT6_21rocsparse_index_base_b
; %bb.0:
	s_clause 0x2
	s_load_b64 s[12:13], s[0:1], 0x60
	s_load_b64 s[4:5], s[0:1], 0x8
	;; [unrolled: 1-line block ×3, first 2 shown]
	s_wait_kmcnt 0x0
	s_bitcmp1_b32 s13, 0
	v_dual_mov_b32 v1, s4 :: v_dual_mov_b32 v2, s5
	s_cselect_b32 s6, -1, 0
	s_delay_alu instid0(SALU_CYCLE_1)
	s_and_b32 vcc_lo, exec_lo, s6
	s_xor_b32 s6, s6, -1
	s_cbranch_vccnz .LBB17_2
; %bb.1:
	v_dual_mov_b32 v1, s4 :: v_dual_mov_b32 v2, s5
	flat_load_b64 v[1:2], v[1:2]
.LBB17_2:
	v_dual_mov_b32 v4, s3 :: v_dual_mov_b32 v3, s2
	s_and_not1_b32 vcc_lo, exec_lo, s6
	s_cbranch_vccnz .LBB17_4
; %bb.3:
	v_dual_mov_b32 v4, s3 :: v_dual_mov_b32 v3, s2
	flat_load_b64 v[3:4], v[3:4]
.LBB17_4:
	s_wait_loadcnt_dscnt 0x0
	v_cmp_neq_f64_e32 vcc_lo, 0, v[1:2]
	v_cmp_neq_f64_e64 s2, 1.0, v[3:4]
	s_or_b32 s2, vcc_lo, s2
	s_wait_alu 0xfffe
	s_and_saveexec_b32 s3, s2
	s_cbranch_execz .LBB17_27
; %bb.5:
	s_load_b64 s[2:3], s[0:1], 0x18
	s_wait_kmcnt 0x0
	s_cmp_eq_u64 s[2:3], 0
	s_cbranch_scc1 .LBB17_7
; %bb.6:
	s_mov_b32 s4, ttmp9
	s_ashr_i32 s5, ttmp9, 31
	s_wait_alu 0xfffe
	s_lshl_b64 s[4:5], s[4:5], 2
	s_wait_alu 0xfffe
	s_add_nc_u64 s[2:3], s[2:3], s[4:5]
	s_load_b32 s2, s[2:3], 0x0
	s_wait_kmcnt 0x0
	s_sub_co_i32 s22, s2, s12
	s_branch .LBB17_8
.LBB17_7:
	s_mov_b32 s22, ttmp9
.LBB17_8:
	s_load_b32 s14, s[0:1], 0x40
	v_lshrrev_b32_e32 v5, 5, v0
	s_wait_kmcnt 0x0
	s_delay_alu instid0(VALU_DEP_1)
	v_cmp_gt_i32_e32 vcc_lo, s14, v5
	s_and_b32 exec_lo, exec_lo, vcc_lo
	s_cbranch_execz .LBB17_27
; %bb.9:
	s_clause 0x2
	s_load_b256 s[4:11], s[0:1], 0x20
	s_load_b64 s[16:17], s[0:1], 0x58
	s_load_b64 s[18:19], s[0:1], 0x48
	v_dual_mov_b32 v6, 0 :: v_dual_and_b32 v7, 31, v0
	v_mbcnt_lo_u32_b32 v0, -1, 0
	s_load_b32 s28, s[0:1], 0x0
	v_cmp_eq_f64_e64 s0, 0, v[3:4]
	s_ashr_i32 s23, s22, 31
	s_mov_b32 s13, 0
	v_xor_b32_e32 v8, 16, v0
	v_xor_b32_e32 v9, 8, v0
	s_lshl_b64 s[2:3], s[22:23], 3
	v_xor_b32_e32 v10, 4, v0
	v_xor_b32_e32 v11, 2, v0
	v_cmp_gt_i32_e32 vcc_lo, 32, v8
	v_xor_b32_e32 v12, 1, v0
	s_mov_b32 s15, s13
	v_mul_lo_u32 v21, s14, v5
	v_mul_lo_u32 v22, s14, v7
	s_wait_kmcnt 0x0
	s_wait_alu 0xfffe
	s_add_nc_u64 s[4:5], s[4:5], s[2:3]
	v_cndmask_b32_e32 v8, v0, v8, vcc_lo
	v_cmp_gt_i32_e32 vcc_lo, 32, v9
	s_add_nc_u64 s[2:3], s[6:7], s[2:3]
	s_cmp_eq_u64 s[6:7], 0
	s_wait_alu 0xfffe
	s_add_nc_u64 s[6:7], s[4:5], 8
	s_mul_u64 s[20:21], s[14:15], s[14:15]
	s_cselect_b32 s3, s7, s3
	s_cselect_b32 s2, s6, s2
	s_load_b64 s[24:25], s[4:5], 0x0
	s_load_b64 s[26:27], s[2:3], 0x0
	v_cndmask_b32_e32 v9, v0, v9, vcc_lo
	v_cmp_gt_i32_e32 vcc_lo, 32, v10
	v_cmp_gt_u32_e64 s1, s14, v7
	v_cmp_eq_u32_e64 s2, 31, v7
	s_cmp_lg_u32 s28, 0
	s_wait_alu 0xfffd
	v_dual_cndmask_b32 v10, v0, v10 :: v_dual_lshlrev_b32 v17, 2, v9
	v_cmp_gt_i32_e32 vcc_lo, 32, v11
	s_cselect_b32 s3, -1, 0
	s_wait_alu 0xfffd
	v_cndmask_b32_e32 v11, v0, v11, vcc_lo
	v_cmp_gt_i32_e32 vcc_lo, 32, v12
	s_wait_alu 0xfffd
	s_delay_alu instid0(VALU_DEP_2)
	v_dual_cndmask_b32 v12, v0, v12 :: v_dual_lshlrev_b32 v19, 2, v11
	s_wait_kmcnt 0x0
	v_cmp_lt_i64_e64 s15, s[24:25], s[26:27]
	v_lshlrev_b32_e32 v0, 2, v8
	v_lshlrev_b32_e32 v18, 2, v10
	v_mov_b32_e32 v8, v6
	v_lshlrev_b32_e32 v20, 2, v12
	s_sub_nc_u64 s[4:5], s[24:25], s[12:13]
	s_sub_nc_u64 s[6:7], s[26:27], s[12:13]
	s_mul_i32 s26, s22, s14
	s_wait_alu 0xfffe
	s_mul_u64 s[22:23], s[4:5], s[20:21]
	s_lshl_b32 s27, s14, 5
	s_branch .LBB17_11
.LBB17_10:                              ;   in Loop: Header=BB17_11 Depth=1
	s_wait_alu 0xfffe
	s_or_b32 exec_lo, exec_lo, s24
	v_add_nc_u32_e32 v5, 32, v5
	v_add_nc_u32_e32 v21, s27, v21
	s_delay_alu instid0(VALU_DEP_2) | instskip(SKIP_1) | instid1(SALU_CYCLE_1)
	v_cmp_le_i32_e32 vcc_lo, s14, v5
	s_or_b32 s13, vcc_lo, s13
	s_and_not1_b32 exec_lo, exec_lo, s13
	s_cbranch_execz .LBB17_27
.LBB17_11:                              ; =>This Loop Header: Depth=1
                                        ;     Child Loop BB17_15 Depth 2
                                        ;       Child Loop BB17_18 Depth 3
	v_mov_b32_e32 v9, 0
	v_mov_b32_e32 v10, 0
	s_and_not1_b32 vcc_lo, exec_lo, s15
	s_wait_alu 0xfffe
	s_cbranch_vccnz .LBB17_22
; %bb.12:                               ;   in Loop: Header=BB17_11 Depth=1
	s_wait_dscnt 0x1
	v_ashrrev_i32_e32 v11, 31, v21
	v_add_co_u32 v23, vcc_lo, s22, v21
	v_mov_b32_e32 v9, 0
	v_mov_b32_e32 v10, 0
	s_wait_alu 0xfffd
	v_add_co_ci_u32_e64 v24, null, s23, v11, vcc_lo
	s_mov_b64 s[24:25], s[4:5]
	s_branch .LBB17_15
.LBB17_13:                              ;   in Loop: Header=BB17_15 Depth=2
	s_or_b32 exec_lo, exec_lo, s29
.LBB17_14:                              ;   in Loop: Header=BB17_15 Depth=2
	s_delay_alu instid0(SALU_CYCLE_1)
	s_or_b32 exec_lo, exec_lo, s28
	s_wait_alu 0xfffe
	s_add_nc_u64 s[24:25], s[24:25], 1
	v_add_co_u32 v23, vcc_lo, v23, s20
	s_wait_alu 0xfffe
	v_cmp_ge_i64_e64 s28, s[24:25], s[6:7]
	s_wait_alu 0xfffd
	v_add_co_ci_u32_e64 v24, null, s21, v24, vcc_lo
	s_and_b32 vcc_lo, exec_lo, s28
	s_wait_alu 0xfffe
	s_cbranch_vccnz .LBB17_22
.LBB17_15:                              ;   Parent Loop BB17_11 Depth=1
                                        ; =>  This Loop Header: Depth=2
                                        ;       Child Loop BB17_18 Depth 3
	s_and_saveexec_b32 s28, s1
	s_cbranch_execz .LBB17_14
; %bb.16:                               ;   in Loop: Header=BB17_15 Depth=2
	s_wait_alu 0xfffe
	s_lshl_b64 s[30:31], s[24:25], 2
	s_wait_dscnt 0x0
	v_mad_co_u64_u32 v[11:12], null, s20, s24, v[5:6]
	s_wait_alu 0xfffe
	s_add_nc_u64 s[30:31], s[8:9], s[30:31]
	v_dual_mov_b32 v25, v22 :: v_dual_mov_b32 v14, v8
	s_load_b32 s29, s[30:31], 0x0
	s_mul_i32 s30, s21, s24
	s_mul_i32 s31, s20, s25
	v_mov_b32_e32 v13, v7
	s_wait_alu 0xfffe
	v_add3_u32 v12, s31, s30, v12
	s_wait_kmcnt 0x0
	s_sub_co_i32 s29, s29, s12
	s_delay_alu instid0(SALU_CYCLE_1)
	s_mul_i32 s30, s29, s14
	s_mov_b32 s29, 0
	s_branch .LBB17_18
.LBB17_17:                              ;   in Loop: Header=BB17_18 Depth=3
	v_add_nc_u32_e32 v26, s30, v13
	s_delay_alu instid0(VALU_DEP_2) | instskip(SKIP_1) | instid1(VALU_DEP_3)
	v_lshlrev_b64_e32 v[15:16], 3, v[15:16]
	v_add_nc_u32_e32 v25, s27, v25
	v_ashrrev_i32_e32 v27, 31, v26
	s_delay_alu instid0(VALU_DEP_3) | instskip(SKIP_1) | instid1(VALU_DEP_4)
	v_add_co_u32 v15, vcc_lo, s10, v15
	s_wait_alu 0xfffd
	v_add_co_ci_u32_e64 v16, null, s11, v16, vcc_lo
	s_delay_alu instid0(VALU_DEP_3) | instskip(NEXT) | instid1(VALU_DEP_1)
	v_lshlrev_b64_e32 v[26:27], 3, v[26:27]
	v_add_co_u32 v26, vcc_lo, s18, v26
	s_wait_alu 0xfffd
	s_delay_alu instid0(VALU_DEP_2)
	v_add_co_ci_u32_e64 v27, null, s19, v27, vcc_lo
	v_add_co_u32 v13, vcc_lo, v13, 32
	global_load_b64 v[15:16], v[15:16], off
	global_load_b64 v[26:27], v[26:27], off
	s_wait_alu 0xfffd
	v_add_co_ci_u32_e64 v14, null, 0, v14, vcc_lo
	v_cmp_le_i32_e32 vcc_lo, s14, v13
	s_or_b32 s29, vcc_lo, s29
	s_wait_loadcnt 0x0
	v_fma_f64 v[9:10], v[15:16], v[26:27], v[9:10]
	s_and_not1_b32 exec_lo, exec_lo, s29
	s_cbranch_execz .LBB17_13
.LBB17_18:                              ;   Parent Loop BB17_11 Depth=1
                                        ;     Parent Loop BB17_15 Depth=2
                                        ; =>    This Inner Loop Header: Depth=3
	s_and_b32 vcc_lo, exec_lo, s3
	s_wait_alu 0xfffe
	s_cbranch_vccz .LBB17_20
; %bb.19:                               ;   in Loop: Header=BB17_18 Depth=3
	v_ashrrev_i32_e32 v16, 31, v25
	v_add_co_u32 v15, vcc_lo, v11, v25
	s_wait_alu 0xfffd
	s_delay_alu instid0(VALU_DEP_2)
	v_add_co_ci_u32_e64 v16, null, v12, v16, vcc_lo
	s_cbranch_execnz .LBB17_17
	s_branch .LBB17_21
.LBB17_20:                              ;   in Loop: Header=BB17_18 Depth=3
                                        ; implicit-def: $vgpr15_vgpr16
.LBB17_21:                              ;   in Loop: Header=BB17_18 Depth=3
	v_add_co_u32 v15, vcc_lo, v23, v13
	s_wait_alu 0xfffd
	v_add_co_ci_u32_e64 v16, null, v24, v14, vcc_lo
	s_branch .LBB17_17
.LBB17_22:                              ;   in Loop: Header=BB17_11 Depth=1
	s_wait_dscnt 0x1
	ds_bpermute_b32 v11, v0, v9
	s_wait_dscnt 0x1
	ds_bpermute_b32 v12, v0, v10
	s_wait_dscnt 0x0
	v_add_f64_e32 v[9:10], v[9:10], v[11:12]
	ds_bpermute_b32 v11, v17, v9
	ds_bpermute_b32 v12, v17, v10
	s_wait_dscnt 0x0
	v_add_f64_e32 v[9:10], v[9:10], v[11:12]
	ds_bpermute_b32 v11, v18, v9
	;; [unrolled: 4-line block ×4, first 2 shown]
	ds_bpermute_b32 v12, v20, v10
	s_and_saveexec_b32 s24, s2
	s_cbranch_execz .LBB17_10
; %bb.23:                               ;   in Loop: Header=BB17_11 Depth=1
	s_wait_dscnt 0x0
	v_add_f64_e32 v[9:10], v[9:10], v[11:12]
	v_add_nc_u32_e32 v11, s26, v5
	s_delay_alu instid0(VALU_DEP_1) | instskip(NEXT) | instid1(VALU_DEP_3)
	v_ashrrev_i32_e32 v12, 31, v11
	v_mul_f64_e32 v[9:10], v[1:2], v[9:10]
	s_and_saveexec_b32 s25, s0
	s_wait_alu 0xfffe
	s_xor_b32 s25, exec_lo, s25
	s_cbranch_execz .LBB17_25
; %bb.24:                               ;   in Loop: Header=BB17_11 Depth=1
	v_lshlrev_b64_e32 v[11:12], 3, v[11:12]
	s_delay_alu instid0(VALU_DEP_1) | instskip(SKIP_1) | instid1(VALU_DEP_2)
	v_add_co_u32 v11, vcc_lo, s16, v11
	s_wait_alu 0xfffd
	v_add_co_ci_u32_e64 v12, null, s17, v12, vcc_lo
	global_store_b64 v[11:12], v[9:10], off
                                        ; implicit-def: $vgpr11
                                        ; implicit-def: $vgpr9_vgpr10
.LBB17_25:                              ;   in Loop: Header=BB17_11 Depth=1
	s_wait_alu 0xfffe
	s_and_not1_saveexec_b32 s25, s25
	s_cbranch_execz .LBB17_10
; %bb.26:                               ;   in Loop: Header=BB17_11 Depth=1
	v_lshlrev_b64_e32 v[11:12], 3, v[11:12]
	s_delay_alu instid0(VALU_DEP_1) | instskip(SKIP_1) | instid1(VALU_DEP_2)
	v_add_co_u32 v11, vcc_lo, s16, v11
	s_wait_alu 0xfffd
	v_add_co_ci_u32_e64 v12, null, s17, v12, vcc_lo
	global_load_b64 v[13:14], v[11:12], off
	s_wait_loadcnt 0x0
	v_fma_f64 v[9:10], v[3:4], v[13:14], v[9:10]
	global_store_b64 v[11:12], v[9:10], off
	s_branch .LBB17_10
.LBB17_27:
	s_endpgm
	.section	.rodata,"a",@progbits
	.p2align	6, 0x0
	.amdhsa_kernel _ZN9rocsparseL22bsrxmvn_general_kernelILj1024ELj32EdlidddEEv20rocsparse_direction_NS_24const_host_device_scalarIT1_EET3_PKS5_PKT2_SA_S7_PKT4_S5_PKT5_S4_PT6_21rocsparse_index_base_b
		.amdhsa_group_segment_fixed_size 0
		.amdhsa_private_segment_fixed_size 0
		.amdhsa_kernarg_size 104
		.amdhsa_user_sgpr_count 2
		.amdhsa_user_sgpr_dispatch_ptr 0
		.amdhsa_user_sgpr_queue_ptr 0
		.amdhsa_user_sgpr_kernarg_segment_ptr 1
		.amdhsa_user_sgpr_dispatch_id 0
		.amdhsa_user_sgpr_private_segment_size 0
		.amdhsa_wavefront_size32 1
		.amdhsa_uses_dynamic_stack 0
		.amdhsa_enable_private_segment 0
		.amdhsa_system_sgpr_workgroup_id_x 1
		.amdhsa_system_sgpr_workgroup_id_y 0
		.amdhsa_system_sgpr_workgroup_id_z 0
		.amdhsa_system_sgpr_workgroup_info 0
		.amdhsa_system_vgpr_workitem_id 0
		.amdhsa_next_free_vgpr 28
		.amdhsa_next_free_sgpr 32
		.amdhsa_reserve_vcc 1
		.amdhsa_float_round_mode_32 0
		.amdhsa_float_round_mode_16_64 0
		.amdhsa_float_denorm_mode_32 3
		.amdhsa_float_denorm_mode_16_64 3
		.amdhsa_fp16_overflow 0
		.amdhsa_workgroup_processor_mode 1
		.amdhsa_memory_ordered 1
		.amdhsa_forward_progress 1
		.amdhsa_inst_pref_size 11
		.amdhsa_round_robin_scheduling 0
		.amdhsa_exception_fp_ieee_invalid_op 0
		.amdhsa_exception_fp_denorm_src 0
		.amdhsa_exception_fp_ieee_div_zero 0
		.amdhsa_exception_fp_ieee_overflow 0
		.amdhsa_exception_fp_ieee_underflow 0
		.amdhsa_exception_fp_ieee_inexact 0
		.amdhsa_exception_int_div_zero 0
	.end_amdhsa_kernel
	.section	.text._ZN9rocsparseL22bsrxmvn_general_kernelILj1024ELj32EdlidddEEv20rocsparse_direction_NS_24const_host_device_scalarIT1_EET3_PKS5_PKT2_SA_S7_PKT4_S5_PKT5_S4_PT6_21rocsparse_index_base_b,"axG",@progbits,_ZN9rocsparseL22bsrxmvn_general_kernelILj1024ELj32EdlidddEEv20rocsparse_direction_NS_24const_host_device_scalarIT1_EET3_PKS5_PKT2_SA_S7_PKT4_S5_PKT5_S4_PT6_21rocsparse_index_base_b,comdat
.Lfunc_end17:
	.size	_ZN9rocsparseL22bsrxmvn_general_kernelILj1024ELj32EdlidddEEv20rocsparse_direction_NS_24const_host_device_scalarIT1_EET3_PKS5_PKT2_SA_S7_PKT4_S5_PKT5_S4_PT6_21rocsparse_index_base_b, .Lfunc_end17-_ZN9rocsparseL22bsrxmvn_general_kernelILj1024ELj32EdlidddEEv20rocsparse_direction_NS_24const_host_device_scalarIT1_EET3_PKS5_PKT2_SA_S7_PKT4_S5_PKT5_S4_PT6_21rocsparse_index_base_b
                                        ; -- End function
	.set _ZN9rocsparseL22bsrxmvn_general_kernelILj1024ELj32EdlidddEEv20rocsparse_direction_NS_24const_host_device_scalarIT1_EET3_PKS5_PKT2_SA_S7_PKT4_S5_PKT5_S4_PT6_21rocsparse_index_base_b.num_vgpr, 28
	.set _ZN9rocsparseL22bsrxmvn_general_kernelILj1024ELj32EdlidddEEv20rocsparse_direction_NS_24const_host_device_scalarIT1_EET3_PKS5_PKT2_SA_S7_PKT4_S5_PKT5_S4_PT6_21rocsparse_index_base_b.num_agpr, 0
	.set _ZN9rocsparseL22bsrxmvn_general_kernelILj1024ELj32EdlidddEEv20rocsparse_direction_NS_24const_host_device_scalarIT1_EET3_PKS5_PKT2_SA_S7_PKT4_S5_PKT5_S4_PT6_21rocsparse_index_base_b.numbered_sgpr, 32
	.set _ZN9rocsparseL22bsrxmvn_general_kernelILj1024ELj32EdlidddEEv20rocsparse_direction_NS_24const_host_device_scalarIT1_EET3_PKS5_PKT2_SA_S7_PKT4_S5_PKT5_S4_PT6_21rocsparse_index_base_b.num_named_barrier, 0
	.set _ZN9rocsparseL22bsrxmvn_general_kernelILj1024ELj32EdlidddEEv20rocsparse_direction_NS_24const_host_device_scalarIT1_EET3_PKS5_PKT2_SA_S7_PKT4_S5_PKT5_S4_PT6_21rocsparse_index_base_b.private_seg_size, 0
	.set _ZN9rocsparseL22bsrxmvn_general_kernelILj1024ELj32EdlidddEEv20rocsparse_direction_NS_24const_host_device_scalarIT1_EET3_PKS5_PKT2_SA_S7_PKT4_S5_PKT5_S4_PT6_21rocsparse_index_base_b.uses_vcc, 1
	.set _ZN9rocsparseL22bsrxmvn_general_kernelILj1024ELj32EdlidddEEv20rocsparse_direction_NS_24const_host_device_scalarIT1_EET3_PKS5_PKT2_SA_S7_PKT4_S5_PKT5_S4_PT6_21rocsparse_index_base_b.uses_flat_scratch, 0
	.set _ZN9rocsparseL22bsrxmvn_general_kernelILj1024ELj32EdlidddEEv20rocsparse_direction_NS_24const_host_device_scalarIT1_EET3_PKS5_PKT2_SA_S7_PKT4_S5_PKT5_S4_PT6_21rocsparse_index_base_b.has_dyn_sized_stack, 0
	.set _ZN9rocsparseL22bsrxmvn_general_kernelILj1024ELj32EdlidddEEv20rocsparse_direction_NS_24const_host_device_scalarIT1_EET3_PKS5_PKT2_SA_S7_PKT4_S5_PKT5_S4_PT6_21rocsparse_index_base_b.has_recursion, 0
	.set _ZN9rocsparseL22bsrxmvn_general_kernelILj1024ELj32EdlidddEEv20rocsparse_direction_NS_24const_host_device_scalarIT1_EET3_PKS5_PKT2_SA_S7_PKT4_S5_PKT5_S4_PT6_21rocsparse_index_base_b.has_indirect_call, 0
	.section	.AMDGPU.csdata,"",@progbits
; Kernel info:
; codeLenInByte = 1340
; TotalNumSgprs: 34
; NumVgprs: 28
; ScratchSize: 0
; MemoryBound: 0
; FloatMode: 240
; IeeeMode: 1
; LDSByteSize: 0 bytes/workgroup (compile time only)
; SGPRBlocks: 0
; VGPRBlocks: 3
; NumSGPRsForWavesPerEU: 34
; NumVGPRsForWavesPerEU: 28
; Occupancy: 16
; WaveLimiterHint : 1
; COMPUTE_PGM_RSRC2:SCRATCH_EN: 0
; COMPUTE_PGM_RSRC2:USER_SGPR: 2
; COMPUTE_PGM_RSRC2:TRAP_HANDLER: 0
; COMPUTE_PGM_RSRC2:TGID_X_EN: 1
; COMPUTE_PGM_RSRC2:TGID_Y_EN: 0
; COMPUTE_PGM_RSRC2:TGID_Z_EN: 0
; COMPUTE_PGM_RSRC2:TIDIG_COMP_CNT: 0
	.section	.text._ZN9rocsparseL22bsrxmvn_general_kernelILj64ELj8E21rocsparse_complex_numIfEliS2_S2_S2_EEv20rocsparse_direction_NS_24const_host_device_scalarIT1_EET3_PKS7_PKT2_SC_S9_PKT4_S7_PKT5_S6_PT6_21rocsparse_index_base_b,"axG",@progbits,_ZN9rocsparseL22bsrxmvn_general_kernelILj64ELj8E21rocsparse_complex_numIfEliS2_S2_S2_EEv20rocsparse_direction_NS_24const_host_device_scalarIT1_EET3_PKS7_PKT2_SC_S9_PKT4_S7_PKT5_S6_PT6_21rocsparse_index_base_b,comdat
	.globl	_ZN9rocsparseL22bsrxmvn_general_kernelILj64ELj8E21rocsparse_complex_numIfEliS2_S2_S2_EEv20rocsparse_direction_NS_24const_host_device_scalarIT1_EET3_PKS7_PKT2_SC_S9_PKT4_S7_PKT5_S6_PT6_21rocsparse_index_base_b ; -- Begin function _ZN9rocsparseL22bsrxmvn_general_kernelILj64ELj8E21rocsparse_complex_numIfEliS2_S2_S2_EEv20rocsparse_direction_NS_24const_host_device_scalarIT1_EET3_PKS7_PKT2_SC_S9_PKT4_S7_PKT5_S6_PT6_21rocsparse_index_base_b
	.p2align	8
	.type	_ZN9rocsparseL22bsrxmvn_general_kernelILj64ELj8E21rocsparse_complex_numIfEliS2_S2_S2_EEv20rocsparse_direction_NS_24const_host_device_scalarIT1_EET3_PKS7_PKT2_SC_S9_PKT4_S7_PKT5_S6_PT6_21rocsparse_index_base_b,@function
_ZN9rocsparseL22bsrxmvn_general_kernelILj64ELj8E21rocsparse_complex_numIfEliS2_S2_S2_EEv20rocsparse_direction_NS_24const_host_device_scalarIT1_EET3_PKS7_PKT2_SC_S9_PKT4_S7_PKT5_S6_PT6_21rocsparse_index_base_b: ; @_ZN9rocsparseL22bsrxmvn_general_kernelILj64ELj8E21rocsparse_complex_numIfEliS2_S2_S2_EEv20rocsparse_direction_NS_24const_host_device_scalarIT1_EET3_PKS7_PKT2_SC_S9_PKT4_S7_PKT5_S6_PT6_21rocsparse_index_base_b
; %bb.0:
	s_clause 0x2
	s_load_b64 s[12:13], s[0:1], 0x60
	s_load_b64 s[2:3], s[0:1], 0x8
	s_load_b64 s[4:5], s[0:1], 0x50
	s_add_nc_u64 s[6:7], s[0:1], 8
	s_wait_kmcnt 0x0
	s_bitcmp1_b32 s13, 0
	s_cselect_b32 s2, s6, s2
	s_cselect_b32 s3, s7, s3
	s_delay_alu instid0(SALU_CYCLE_1)
	v_dual_mov_b32 v1, s2 :: v_dual_mov_b32 v2, s3
	s_add_nc_u64 s[2:3], s[0:1], 0x50
	s_wait_alu 0xfffe
	s_cselect_b32 s2, s2, s4
	s_cselect_b32 s3, s3, s5
	flat_load_b64 v[1:2], v[1:2]
	s_wait_alu 0xfffe
	v_dual_mov_b32 v3, s2 :: v_dual_mov_b32 v4, s3
	flat_load_b64 v[3:4], v[3:4]
	s_wait_loadcnt_dscnt 0x101
	v_cmp_eq_f32_e32 vcc_lo, 0, v1
	v_cmp_eq_f32_e64 s2, 0, v2
	s_and_b32 s4, vcc_lo, s2
	s_mov_b32 s2, -1
	s_and_saveexec_b32 s3, s4
	s_cbranch_execz .LBB18_2
; %bb.1:
	s_wait_loadcnt_dscnt 0x0
	v_cmp_neq_f32_e32 vcc_lo, 1.0, v3
	v_cmp_neq_f32_e64 s2, 0, v4
	s_wait_alu 0xfffe
	s_or_b32 s2, vcc_lo, s2
	s_wait_alu 0xfffe
	s_or_not1_b32 s2, s2, exec_lo
.LBB18_2:
	s_wait_alu 0xfffe
	s_or_b32 exec_lo, exec_lo, s3
	s_and_saveexec_b32 s3, s2
	s_cbranch_execz .LBB18_25
; %bb.3:
	s_load_b64 s[2:3], s[0:1], 0x18
	s_wait_kmcnt 0x0
	s_cmp_eq_u64 s[2:3], 0
	s_cbranch_scc1 .LBB18_5
; %bb.4:
	s_mov_b32 s4, ttmp9
	s_ashr_i32 s5, ttmp9, 31
	s_delay_alu instid0(SALU_CYCLE_1) | instskip(NEXT) | instid1(SALU_CYCLE_1)
	s_lshl_b64 s[4:5], s[4:5], 2
	s_add_nc_u64 s[2:3], s[2:3], s[4:5]
	s_load_b32 s2, s[2:3], 0x0
	s_wait_kmcnt 0x0
	s_sub_co_i32 s20, s2, s12
	s_branch .LBB18_6
.LBB18_5:
	s_mov_b32 s20, ttmp9
.LBB18_6:
	s_load_b32 s14, s[0:1], 0x40
	v_lshrrev_b32_e32 v5, 3, v0
	s_wait_kmcnt 0x0
	s_delay_alu instid0(VALU_DEP_1)
	v_cmp_gt_i32_e32 vcc_lo, s14, v5
	s_and_b32 exec_lo, exec_lo, vcc_lo
	s_cbranch_execz .LBB18_25
; %bb.7:
	s_clause 0x2
	s_load_b256 s[4:11], s[0:1], 0x20
	s_load_b64 s[16:17], s[0:1], 0x58
	s_load_b64 s[18:19], s[0:1], 0x48
	s_ashr_i32 s21, s20, 31
	v_mbcnt_lo_u32_b32 v6, -1, 0
	s_load_b32 s24, s[0:1], 0x0
	s_lshl_b64 s[0:1], s[20:21], 3
	v_dual_mov_b32 v8, 0 :: v_dual_and_b32 v7, 7, v0
	s_delay_alu instid0(VALU_DEP_2)
	v_xor_b32_e32 v9, 4, v6
	v_xor_b32_e32 v10, 2, v6
	;; [unrolled: 1-line block ×3, first 2 shown]
	s_wait_loadcnt_dscnt 0x0
	v_cmp_eq_f32_e32 vcc_lo, 0, v3
	v_cmp_eq_f32_e64 s2, 0, v4
	v_cmp_gt_i32_e64 s3, 32, v9
	s_mov_b32 s13, 0
	v_mul_lo_u32 v0, s14, v5
	v_mul_lo_u32 v15, s14, v7
	s_mov_b32 s15, s13
	s_wait_alu 0xf1ff
	v_cndmask_b32_e64 v9, v6, v9, s3
	s_wait_kmcnt 0x0
	s_add_nc_u64 s[22:23], s[4:5], s[0:1]
	s_add_nc_u64 s[0:1], s[6:7], s[0:1]
	s_cmp_eq_u64 s[6:7], 0
	s_add_nc_u64 s[6:7], s[22:23], 8
	v_cmp_gt_i32_e64 s3, 32, v10
	s_cselect_b32 s1, s7, s1
	s_cselect_b32 s0, s6, s0
	s_load_b64 s[22:23], s[22:23], 0x0
	s_load_b64 s[26:27], s[0:1], 0x0
	s_cmp_lg_u32 s24, 0
	v_cndmask_b32_e64 v10, v6, v10, s3
	v_cmp_gt_i32_e64 s3, 32, v11
	v_cmp_gt_u32_e64 s0, s14, v7
	v_cmp_eq_u32_e64 s1, 7, v7
	v_lshlrev_b32_e32 v16, 2, v9
	v_lshlrev_b32_e32 v17, 2, v10
	s_wait_alu 0xf1ff
	v_cndmask_b32_e64 v6, v6, v11, s3
	s_mul_u64 s[4:5], s[14:15], s[14:15]
	s_cselect_b32 s15, -1, 0
	s_and_b32 s24, vcc_lo, s2
	s_delay_alu instid0(VALU_DEP_1)
	v_lshlrev_b32_e32 v18, 2, v6
	s_wait_kmcnt 0x0
	s_sub_nc_u64 s[2:3], s[22:23], s[12:13]
	v_cmp_lt_i64_e64 s25, s[22:23], s[26:27]
	s_sub_nc_u64 s[6:7], s[26:27], s[12:13]
	s_mul_i32 s26, s20, s14
	s_wait_alu 0xfffe
	s_mul_u64 s[20:21], s[2:3], s[4:5]
	s_lshl_b32 s27, s14, 3
	s_branch .LBB18_9
.LBB18_8:                               ;   in Loop: Header=BB18_9 Depth=1
	s_wait_alu 0xfffe
	s_or_b32 exec_lo, exec_lo, s22
	v_add_nc_u32_e32 v5, 8, v5
	v_add_nc_u32_e32 v0, s27, v0
	s_delay_alu instid0(VALU_DEP_2) | instskip(SKIP_1) | instid1(SALU_CYCLE_1)
	v_cmp_le_i32_e32 vcc_lo, s14, v5
	s_or_b32 s13, vcc_lo, s13
	s_and_not1_b32 exec_lo, exec_lo, s13
	s_cbranch_execz .LBB18_25
.LBB18_9:                               ; =>This Loop Header: Depth=1
                                        ;     Child Loop BB18_13 Depth 2
                                        ;       Child Loop BB18_16 Depth 3
	v_dual_mov_b32 v19, 0 :: v_dual_mov_b32 v20, 0
	s_and_not1_b32 vcc_lo, exec_lo, s25
	s_wait_alu 0xfffe
	s_cbranch_vccnz .LBB18_20
; %bb.10:                               ;   in Loop: Header=BB18_9 Depth=1
	s_wait_dscnt 0x1
	v_ashrrev_i32_e32 v9, 31, v0
	v_add_co_u32 v21, vcc_lo, s20, v0
	v_ashrrev_i32_e32 v6, 31, v5
	v_dual_mov_b32 v19, 0 :: v_dual_mov_b32 v20, 0
	s_wait_alu 0xfffd
	v_add_co_ci_u32_e64 v22, null, s21, v9, vcc_lo
	s_mov_b64 s[22:23], s[2:3]
	s_branch .LBB18_13
.LBB18_11:                              ;   in Loop: Header=BB18_13 Depth=2
	s_or_b32 exec_lo, exec_lo, s29
.LBB18_12:                              ;   in Loop: Header=BB18_13 Depth=2
	s_delay_alu instid0(SALU_CYCLE_1)
	s_or_b32 exec_lo, exec_lo, s28
	s_wait_alu 0xfffe
	s_add_nc_u64 s[22:23], s[22:23], 1
	v_add_co_u32 v21, vcc_lo, v21, s4
	s_wait_alu 0xfffe
	v_cmp_ge_i64_e64 s28, s[22:23], s[6:7]
	s_wait_alu 0xfffd
	v_add_co_ci_u32_e64 v22, null, s5, v22, vcc_lo
	s_and_b32 vcc_lo, exec_lo, s28
	s_wait_alu 0xfffe
	s_cbranch_vccnz .LBB18_20
.LBB18_13:                              ;   Parent Loop BB18_9 Depth=1
                                        ; =>  This Loop Header: Depth=2
                                        ;       Child Loop BB18_16 Depth 3
	s_and_saveexec_b32 s28, s0
	s_cbranch_execz .LBB18_12
; %bb.14:                               ;   in Loop: Header=BB18_13 Depth=2
	s_wait_alu 0xfffe
	s_lshl_b64 s[30:31], s[22:23], 2
	v_mad_co_u64_u32 v[9:10], null, s4, s22, v[5:6]
	s_wait_alu 0xfffe
	s_add_nc_u64 s[30:31], s[8:9], s[30:31]
	s_wait_dscnt 0x0
	v_dual_mov_b32 v23, v15 :: v_dual_mov_b32 v12, v8
	s_load_b32 s29, s[30:31], 0x0
	s_mul_i32 s30, s5, s22
	s_mul_i32 s31, s4, s23
	v_mov_b32_e32 v11, v7
	s_wait_alu 0xfffe
	v_add3_u32 v10, s31, s30, v10
	s_wait_kmcnt 0x0
	s_sub_co_i32 s29, s29, s12
	s_delay_alu instid0(SALU_CYCLE_1)
	s_mul_i32 s30, s29, s14
	s_mov_b32 s29, 0
	s_branch .LBB18_16
.LBB18_15:                              ;   in Loop: Header=BB18_16 Depth=3
	v_add_nc_u32_e32 v24, s30, v11
	s_delay_alu instid0(VALU_DEP_2) | instskip(SKIP_1) | instid1(VALU_DEP_3)
	v_lshlrev_b64_e32 v[13:14], 3, v[13:14]
	v_add_nc_u32_e32 v23, s27, v23
	v_ashrrev_i32_e32 v25, 31, v24
	s_delay_alu instid0(VALU_DEP_3) | instskip(SKIP_1) | instid1(VALU_DEP_4)
	v_add_co_u32 v13, vcc_lo, s10, v13
	s_wait_alu 0xfffd
	v_add_co_ci_u32_e64 v14, null, s11, v14, vcc_lo
	s_delay_alu instid0(VALU_DEP_3) | instskip(NEXT) | instid1(VALU_DEP_1)
	v_lshlrev_b64_e32 v[24:25], 3, v[24:25]
	v_add_co_u32 v24, vcc_lo, s18, v24
	s_wait_alu 0xfffd
	s_delay_alu instid0(VALU_DEP_2)
	v_add_co_ci_u32_e64 v25, null, s19, v25, vcc_lo
	global_load_b64 v[13:14], v[13:14], off
	global_load_b64 v[24:25], v[24:25], off
	v_add_co_u32 v11, vcc_lo, v11, 8
	s_wait_alu 0xfffd
	v_add_co_ci_u32_e64 v12, null, 0, v12, vcc_lo
	s_delay_alu instid0(VALU_DEP_2) | instskip(SKIP_4) | instid1(VALU_DEP_2)
	v_cmp_le_i32_e32 vcc_lo, s14, v11
	s_or_b32 s29, vcc_lo, s29
	s_wait_loadcnt 0x0
	v_fmac_f32_e32 v20, v13, v24
	v_fmac_f32_e32 v19, v14, v24
	v_fma_f32 v20, -v14, v25, v20
	s_delay_alu instid0(VALU_DEP_2)
	v_fmac_f32_e32 v19, v13, v25
	s_and_not1_b32 exec_lo, exec_lo, s29
	s_cbranch_execz .LBB18_11
.LBB18_16:                              ;   Parent Loop BB18_9 Depth=1
                                        ;     Parent Loop BB18_13 Depth=2
                                        ; =>    This Inner Loop Header: Depth=3
	s_and_b32 vcc_lo, exec_lo, s15
	s_wait_alu 0xfffe
	s_cbranch_vccz .LBB18_18
; %bb.17:                               ;   in Loop: Header=BB18_16 Depth=3
	v_ashrrev_i32_e32 v14, 31, v23
	v_add_co_u32 v13, vcc_lo, v9, v23
	s_wait_alu 0xfffd
	s_delay_alu instid0(VALU_DEP_2)
	v_add_co_ci_u32_e64 v14, null, v10, v14, vcc_lo
	s_cbranch_execnz .LBB18_15
	s_branch .LBB18_19
.LBB18_18:                              ;   in Loop: Header=BB18_16 Depth=3
                                        ; implicit-def: $vgpr13_vgpr14
.LBB18_19:                              ;   in Loop: Header=BB18_16 Depth=3
	v_add_co_u32 v13, vcc_lo, v21, v11
	s_wait_alu 0xfffd
	v_add_co_ci_u32_e64 v14, null, v22, v12, vcc_lo
	s_branch .LBB18_15
.LBB18_20:                              ;   in Loop: Header=BB18_9 Depth=1
	ds_bpermute_b32 v6, v16, v20
	s_wait_dscnt 0x2
	ds_bpermute_b32 v9, v16, v19
	s_wait_dscnt 0x0
	v_dual_add_f32 v6, v20, v6 :: v_dual_add_f32 v9, v19, v9
	ds_bpermute_b32 v10, v17, v6
	ds_bpermute_b32 v11, v17, v9
	s_wait_dscnt 0x1
	v_add_f32_e32 v6, v6, v10
	s_wait_dscnt 0x0
	v_add_f32_e32 v10, v9, v11
	ds_bpermute_b32 v9, v18, v6
	ds_bpermute_b32 v11, v18, v10
	s_and_saveexec_b32 s22, s1
	s_cbranch_execz .LBB18_8
; %bb.21:                               ;   in Loop: Header=BB18_9 Depth=1
	s_wait_dscnt 0x0
	v_dual_add_f32 v10, v10, v11 :: v_dual_add_nc_u32 v11, s26, v5
	v_add_f32_e32 v6, v6, v9
	s_delay_alu instid0(VALU_DEP_2) | instskip(SKIP_1) | instid1(VALU_DEP_4)
	v_mul_f32_e64 v9, v10, -v2
	v_mul_f32_e32 v10, v1, v10
	v_ashrrev_i32_e32 v12, 31, v11
	s_delay_alu instid0(VALU_DEP_3) | instskip(NEXT) | instid1(VALU_DEP_3)
	v_fmac_f32_e32 v9, v1, v6
	v_fmac_f32_e32 v10, v2, v6
	s_and_saveexec_b32 s23, s24
	s_wait_alu 0xfffe
	s_xor_b32 s23, exec_lo, s23
	s_cbranch_execz .LBB18_23
; %bb.22:                               ;   in Loop: Header=BB18_9 Depth=1
	v_lshlrev_b64_e32 v[11:12], 3, v[11:12]
	s_delay_alu instid0(VALU_DEP_1) | instskip(SKIP_1) | instid1(VALU_DEP_2)
	v_add_co_u32 v11, vcc_lo, s16, v11
	s_wait_alu 0xfffd
	v_add_co_ci_u32_e64 v12, null, s17, v12, vcc_lo
	global_store_b64 v[11:12], v[9:10], off
                                        ; implicit-def: $vgpr11
                                        ; implicit-def: $vgpr9
.LBB18_23:                              ;   in Loop: Header=BB18_9 Depth=1
	s_wait_alu 0xfffe
	s_and_not1_saveexec_b32 s23, s23
	s_cbranch_execz .LBB18_8
; %bb.24:                               ;   in Loop: Header=BB18_9 Depth=1
	v_lshlrev_b64_e32 v[11:12], 3, v[11:12]
	s_delay_alu instid0(VALU_DEP_1) | instskip(SKIP_1) | instid1(VALU_DEP_2)
	v_add_co_u32 v11, vcc_lo, s16, v11
	s_wait_alu 0xfffd
	v_add_co_ci_u32_e64 v12, null, s17, v12, vcc_lo
	global_load_b64 v[13:14], v[11:12], off
	s_wait_loadcnt 0x0
	v_fmac_f32_e32 v9, v3, v13
	v_fmac_f32_e32 v10, v4, v13
	s_delay_alu instid0(VALU_DEP_2) | instskip(NEXT) | instid1(VALU_DEP_2)
	v_fma_f32 v9, -v4, v14, v9
	v_fmac_f32_e32 v10, v3, v14
	global_store_b64 v[11:12], v[9:10], off
	s_branch .LBB18_8
.LBB18_25:
	s_endpgm
	.section	.rodata,"a",@progbits
	.p2align	6, 0x0
	.amdhsa_kernel _ZN9rocsparseL22bsrxmvn_general_kernelILj64ELj8E21rocsparse_complex_numIfEliS2_S2_S2_EEv20rocsparse_direction_NS_24const_host_device_scalarIT1_EET3_PKS7_PKT2_SC_S9_PKT4_S7_PKT5_S6_PT6_21rocsparse_index_base_b
		.amdhsa_group_segment_fixed_size 0
		.amdhsa_private_segment_fixed_size 0
		.amdhsa_kernarg_size 104
		.amdhsa_user_sgpr_count 2
		.amdhsa_user_sgpr_dispatch_ptr 0
		.amdhsa_user_sgpr_queue_ptr 0
		.amdhsa_user_sgpr_kernarg_segment_ptr 1
		.amdhsa_user_sgpr_dispatch_id 0
		.amdhsa_user_sgpr_private_segment_size 0
		.amdhsa_wavefront_size32 1
		.amdhsa_uses_dynamic_stack 0
		.amdhsa_enable_private_segment 0
		.amdhsa_system_sgpr_workgroup_id_x 1
		.amdhsa_system_sgpr_workgroup_id_y 0
		.amdhsa_system_sgpr_workgroup_id_z 0
		.amdhsa_system_sgpr_workgroup_info 0
		.amdhsa_system_vgpr_workitem_id 0
		.amdhsa_next_free_vgpr 26
		.amdhsa_next_free_sgpr 32
		.amdhsa_reserve_vcc 1
		.amdhsa_float_round_mode_32 0
		.amdhsa_float_round_mode_16_64 0
		.amdhsa_float_denorm_mode_32 3
		.amdhsa_float_denorm_mode_16_64 3
		.amdhsa_fp16_overflow 0
		.amdhsa_workgroup_processor_mode 1
		.amdhsa_memory_ordered 1
		.amdhsa_forward_progress 1
		.amdhsa_inst_pref_size 11
		.amdhsa_round_robin_scheduling 0
		.amdhsa_exception_fp_ieee_invalid_op 0
		.amdhsa_exception_fp_denorm_src 0
		.amdhsa_exception_fp_ieee_div_zero 0
		.amdhsa_exception_fp_ieee_overflow 0
		.amdhsa_exception_fp_ieee_underflow 0
		.amdhsa_exception_fp_ieee_inexact 0
		.amdhsa_exception_int_div_zero 0
	.end_amdhsa_kernel
	.section	.text._ZN9rocsparseL22bsrxmvn_general_kernelILj64ELj8E21rocsparse_complex_numIfEliS2_S2_S2_EEv20rocsparse_direction_NS_24const_host_device_scalarIT1_EET3_PKS7_PKT2_SC_S9_PKT4_S7_PKT5_S6_PT6_21rocsparse_index_base_b,"axG",@progbits,_ZN9rocsparseL22bsrxmvn_general_kernelILj64ELj8E21rocsparse_complex_numIfEliS2_S2_S2_EEv20rocsparse_direction_NS_24const_host_device_scalarIT1_EET3_PKS7_PKT2_SC_S9_PKT4_S7_PKT5_S6_PT6_21rocsparse_index_base_b,comdat
.Lfunc_end18:
	.size	_ZN9rocsparseL22bsrxmvn_general_kernelILj64ELj8E21rocsparse_complex_numIfEliS2_S2_S2_EEv20rocsparse_direction_NS_24const_host_device_scalarIT1_EET3_PKS7_PKT2_SC_S9_PKT4_S7_PKT5_S6_PT6_21rocsparse_index_base_b, .Lfunc_end18-_ZN9rocsparseL22bsrxmvn_general_kernelILj64ELj8E21rocsparse_complex_numIfEliS2_S2_S2_EEv20rocsparse_direction_NS_24const_host_device_scalarIT1_EET3_PKS7_PKT2_SC_S9_PKT4_S7_PKT5_S6_PT6_21rocsparse_index_base_b
                                        ; -- End function
	.set _ZN9rocsparseL22bsrxmvn_general_kernelILj64ELj8E21rocsparse_complex_numIfEliS2_S2_S2_EEv20rocsparse_direction_NS_24const_host_device_scalarIT1_EET3_PKS7_PKT2_SC_S9_PKT4_S7_PKT5_S6_PT6_21rocsparse_index_base_b.num_vgpr, 26
	.set _ZN9rocsparseL22bsrxmvn_general_kernelILj64ELj8E21rocsparse_complex_numIfEliS2_S2_S2_EEv20rocsparse_direction_NS_24const_host_device_scalarIT1_EET3_PKS7_PKT2_SC_S9_PKT4_S7_PKT5_S6_PT6_21rocsparse_index_base_b.num_agpr, 0
	.set _ZN9rocsparseL22bsrxmvn_general_kernelILj64ELj8E21rocsparse_complex_numIfEliS2_S2_S2_EEv20rocsparse_direction_NS_24const_host_device_scalarIT1_EET3_PKS7_PKT2_SC_S9_PKT4_S7_PKT5_S6_PT6_21rocsparse_index_base_b.numbered_sgpr, 32
	.set _ZN9rocsparseL22bsrxmvn_general_kernelILj64ELj8E21rocsparse_complex_numIfEliS2_S2_S2_EEv20rocsparse_direction_NS_24const_host_device_scalarIT1_EET3_PKS7_PKT2_SC_S9_PKT4_S7_PKT5_S6_PT6_21rocsparse_index_base_b.num_named_barrier, 0
	.set _ZN9rocsparseL22bsrxmvn_general_kernelILj64ELj8E21rocsparse_complex_numIfEliS2_S2_S2_EEv20rocsparse_direction_NS_24const_host_device_scalarIT1_EET3_PKS7_PKT2_SC_S9_PKT4_S7_PKT5_S6_PT6_21rocsparse_index_base_b.private_seg_size, 0
	.set _ZN9rocsparseL22bsrxmvn_general_kernelILj64ELj8E21rocsparse_complex_numIfEliS2_S2_S2_EEv20rocsparse_direction_NS_24const_host_device_scalarIT1_EET3_PKS7_PKT2_SC_S9_PKT4_S7_PKT5_S6_PT6_21rocsparse_index_base_b.uses_vcc, 1
	.set _ZN9rocsparseL22bsrxmvn_general_kernelILj64ELj8E21rocsparse_complex_numIfEliS2_S2_S2_EEv20rocsparse_direction_NS_24const_host_device_scalarIT1_EET3_PKS7_PKT2_SC_S9_PKT4_S7_PKT5_S6_PT6_21rocsparse_index_base_b.uses_flat_scratch, 0
	.set _ZN9rocsparseL22bsrxmvn_general_kernelILj64ELj8E21rocsparse_complex_numIfEliS2_S2_S2_EEv20rocsparse_direction_NS_24const_host_device_scalarIT1_EET3_PKS7_PKT2_SC_S9_PKT4_S7_PKT5_S6_PT6_21rocsparse_index_base_b.has_dyn_sized_stack, 0
	.set _ZN9rocsparseL22bsrxmvn_general_kernelILj64ELj8E21rocsparse_complex_numIfEliS2_S2_S2_EEv20rocsparse_direction_NS_24const_host_device_scalarIT1_EET3_PKS7_PKT2_SC_S9_PKT4_S7_PKT5_S6_PT6_21rocsparse_index_base_b.has_recursion, 0
	.set _ZN9rocsparseL22bsrxmvn_general_kernelILj64ELj8E21rocsparse_complex_numIfEliS2_S2_S2_EEv20rocsparse_direction_NS_24const_host_device_scalarIT1_EET3_PKS7_PKT2_SC_S9_PKT4_S7_PKT5_S6_PT6_21rocsparse_index_base_b.has_indirect_call, 0
	.section	.AMDGPU.csdata,"",@progbits
; Kernel info:
; codeLenInByte = 1396
; TotalNumSgprs: 34
; NumVgprs: 26
; ScratchSize: 0
; MemoryBound: 0
; FloatMode: 240
; IeeeMode: 1
; LDSByteSize: 0 bytes/workgroup (compile time only)
; SGPRBlocks: 0
; VGPRBlocks: 3
; NumSGPRsForWavesPerEU: 34
; NumVGPRsForWavesPerEU: 26
; Occupancy: 16
; WaveLimiterHint : 1
; COMPUTE_PGM_RSRC2:SCRATCH_EN: 0
; COMPUTE_PGM_RSRC2:USER_SGPR: 2
; COMPUTE_PGM_RSRC2:TRAP_HANDLER: 0
; COMPUTE_PGM_RSRC2:TGID_X_EN: 1
; COMPUTE_PGM_RSRC2:TGID_Y_EN: 0
; COMPUTE_PGM_RSRC2:TGID_Z_EN: 0
; COMPUTE_PGM_RSRC2:TIDIG_COMP_CNT: 0
	.section	.text._ZN9rocsparseL22bsrxmvn_general_kernelILj256ELj16E21rocsparse_complex_numIfEliS2_S2_S2_EEv20rocsparse_direction_NS_24const_host_device_scalarIT1_EET3_PKS7_PKT2_SC_S9_PKT4_S7_PKT5_S6_PT6_21rocsparse_index_base_b,"axG",@progbits,_ZN9rocsparseL22bsrxmvn_general_kernelILj256ELj16E21rocsparse_complex_numIfEliS2_S2_S2_EEv20rocsparse_direction_NS_24const_host_device_scalarIT1_EET3_PKS7_PKT2_SC_S9_PKT4_S7_PKT5_S6_PT6_21rocsparse_index_base_b,comdat
	.globl	_ZN9rocsparseL22bsrxmvn_general_kernelILj256ELj16E21rocsparse_complex_numIfEliS2_S2_S2_EEv20rocsparse_direction_NS_24const_host_device_scalarIT1_EET3_PKS7_PKT2_SC_S9_PKT4_S7_PKT5_S6_PT6_21rocsparse_index_base_b ; -- Begin function _ZN9rocsparseL22bsrxmvn_general_kernelILj256ELj16E21rocsparse_complex_numIfEliS2_S2_S2_EEv20rocsparse_direction_NS_24const_host_device_scalarIT1_EET3_PKS7_PKT2_SC_S9_PKT4_S7_PKT5_S6_PT6_21rocsparse_index_base_b
	.p2align	8
	.type	_ZN9rocsparseL22bsrxmvn_general_kernelILj256ELj16E21rocsparse_complex_numIfEliS2_S2_S2_EEv20rocsparse_direction_NS_24const_host_device_scalarIT1_EET3_PKS7_PKT2_SC_S9_PKT4_S7_PKT5_S6_PT6_21rocsparse_index_base_b,@function
_ZN9rocsparseL22bsrxmvn_general_kernelILj256ELj16E21rocsparse_complex_numIfEliS2_S2_S2_EEv20rocsparse_direction_NS_24const_host_device_scalarIT1_EET3_PKS7_PKT2_SC_S9_PKT4_S7_PKT5_S6_PT6_21rocsparse_index_base_b: ; @_ZN9rocsparseL22bsrxmvn_general_kernelILj256ELj16E21rocsparse_complex_numIfEliS2_S2_S2_EEv20rocsparse_direction_NS_24const_host_device_scalarIT1_EET3_PKS7_PKT2_SC_S9_PKT4_S7_PKT5_S6_PT6_21rocsparse_index_base_b
; %bb.0:
	s_clause 0x2
	s_load_b64 s[12:13], s[0:1], 0x60
	s_load_b64 s[2:3], s[0:1], 0x8
	;; [unrolled: 1-line block ×3, first 2 shown]
	s_add_nc_u64 s[6:7], s[0:1], 8
	s_wait_kmcnt 0x0
	s_bitcmp1_b32 s13, 0
	s_cselect_b32 s2, s6, s2
	s_cselect_b32 s3, s7, s3
	s_delay_alu instid0(SALU_CYCLE_1)
	v_dual_mov_b32 v1, s2 :: v_dual_mov_b32 v2, s3
	s_add_nc_u64 s[2:3], s[0:1], 0x50
	s_wait_alu 0xfffe
	s_cselect_b32 s2, s2, s4
	s_cselect_b32 s3, s3, s5
	flat_load_b64 v[1:2], v[1:2]
	s_wait_alu 0xfffe
	v_dual_mov_b32 v3, s2 :: v_dual_mov_b32 v4, s3
	flat_load_b64 v[3:4], v[3:4]
	s_wait_loadcnt_dscnt 0x101
	v_cmp_eq_f32_e32 vcc_lo, 0, v1
	v_cmp_eq_f32_e64 s2, 0, v2
	s_and_b32 s4, vcc_lo, s2
	s_mov_b32 s2, -1
	s_and_saveexec_b32 s3, s4
	s_cbranch_execz .LBB19_2
; %bb.1:
	s_wait_loadcnt_dscnt 0x0
	v_cmp_neq_f32_e32 vcc_lo, 1.0, v3
	v_cmp_neq_f32_e64 s2, 0, v4
	s_wait_alu 0xfffe
	s_or_b32 s2, vcc_lo, s2
	s_wait_alu 0xfffe
	s_or_not1_b32 s2, s2, exec_lo
.LBB19_2:
	s_wait_alu 0xfffe
	s_or_b32 exec_lo, exec_lo, s3
	s_and_saveexec_b32 s3, s2
	s_cbranch_execz .LBB19_25
; %bb.3:
	s_load_b64 s[2:3], s[0:1], 0x18
	s_wait_kmcnt 0x0
	s_cmp_eq_u64 s[2:3], 0
	s_cbranch_scc1 .LBB19_5
; %bb.4:
	s_mov_b32 s4, ttmp9
	s_ashr_i32 s5, ttmp9, 31
	s_delay_alu instid0(SALU_CYCLE_1) | instskip(NEXT) | instid1(SALU_CYCLE_1)
	s_lshl_b64 s[4:5], s[4:5], 2
	s_add_nc_u64 s[2:3], s[2:3], s[4:5]
	s_load_b32 s2, s[2:3], 0x0
	s_wait_kmcnt 0x0
	s_sub_co_i32 s22, s2, s12
	s_branch .LBB19_6
.LBB19_5:
	s_mov_b32 s22, ttmp9
.LBB19_6:
	s_load_b32 s14, s[0:1], 0x40
	v_lshrrev_b32_e32 v5, 4, v0
	s_wait_kmcnt 0x0
	s_delay_alu instid0(VALU_DEP_1)
	v_cmp_gt_i32_e32 vcc_lo, s14, v5
	s_and_b32 exec_lo, exec_lo, vcc_lo
	s_cbranch_execz .LBB19_25
; %bb.7:
	s_clause 0x2
	s_load_b256 s[4:11], s[0:1], 0x20
	s_load_b64 s[16:17], s[0:1], 0x58
	s_load_b64 s[18:19], s[0:1], 0x48
	v_mbcnt_lo_u32_b32 v6, -1, 0
	s_ashr_i32 s23, s22, 31
	s_load_b32 s28, s[0:1], 0x0
	s_lshl_b64 s[24:25], s[22:23], 3
	v_dual_mov_b32 v8, 0 :: v_dual_and_b32 v7, 15, v0
	v_xor_b32_e32 v9, 8, v6
	v_xor_b32_e32 v10, 4, v6
	;; [unrolled: 1-line block ×4, first 2 shown]
	s_wait_loadcnt_dscnt 0x0
	v_cmp_eq_f32_e32 vcc_lo, 0, v3
	v_cmp_gt_i32_e64 s3, 32, v9
	v_cmp_eq_f32_e64 s2, 0, v4
	s_mov_b32 s13, 0
	v_mul_lo_u32 v0, s14, v5
	v_mul_lo_u32 v15, s14, v7
	s_wait_alu 0xf1ff
	v_cndmask_b32_e64 v9, v6, v9, s3
	s_wait_kmcnt 0x0
	s_add_nc_u64 s[4:5], s[4:5], s[24:25]
	s_add_nc_u64 s[24:25], s[6:7], s[24:25]
	s_cmp_eq_u64 s[6:7], 0
	s_add_nc_u64 s[6:7], s[4:5], 8
	v_cmp_gt_i32_e64 s3, 32, v10
	s_cselect_b32 s7, s7, s25
	s_cselect_b32 s6, s6, s24
	s_load_b64 s[26:27], s[4:5], 0x0
	s_load_b64 s[6:7], s[6:7], 0x0
	s_mov_b32 s15, s13
	v_cndmask_b32_e64 v10, v6, v10, s3
	v_cmp_gt_i32_e64 s3, 32, v11
	s_cmp_lg_u32 s28, 0
	v_cmp_gt_u32_e64 s0, s14, v7
	v_cmp_eq_u32_e64 s1, 15, v7
	v_lshlrev_b32_e32 v16, 2, v9
	s_wait_alu 0xf1ff
	v_cndmask_b32_e64 v11, v6, v11, s3
	v_cmp_gt_i32_e64 s3, 32, v12
	v_lshlrev_b32_e32 v17, 2, v10
	s_wait_alu 0xfffe
	s_mul_u64 s[20:21], s[14:15], s[14:15]
	s_cselect_b32 s15, -1, 0
	v_lshlrev_b32_e32 v18, 2, v11
	v_cndmask_b32_e64 v6, v6, v12, s3
	s_and_b32 s24, vcc_lo, s2
	s_delay_alu instid0(VALU_DEP_1)
	v_lshlrev_b32_e32 v19, 2, v6
	s_wait_kmcnt 0x0
	v_cmp_lt_i64_e64 s25, s[26:27], s[6:7]
	s_sub_nc_u64 s[2:3], s[26:27], s[12:13]
	s_sub_nc_u64 s[4:5], s[6:7], s[12:13]
	s_mul_i32 s26, s22, s14
	s_wait_alu 0xfffe
	s_mul_u64 s[6:7], s[2:3], s[20:21]
	s_lshl_b32 s27, s14, 4
	s_branch .LBB19_9
.LBB19_8:                               ;   in Loop: Header=BB19_9 Depth=1
	s_wait_alu 0xfffe
	s_or_b32 exec_lo, exec_lo, s22
	v_add_nc_u32_e32 v5, 16, v5
	v_add_nc_u32_e32 v0, s27, v0
	s_delay_alu instid0(VALU_DEP_2) | instskip(SKIP_1) | instid1(SALU_CYCLE_1)
	v_cmp_le_i32_e32 vcc_lo, s14, v5
	s_or_b32 s13, vcc_lo, s13
	s_and_not1_b32 exec_lo, exec_lo, s13
	s_cbranch_execz .LBB19_25
.LBB19_9:                               ; =>This Loop Header: Depth=1
                                        ;     Child Loop BB19_13 Depth 2
                                        ;       Child Loop BB19_16 Depth 3
	v_dual_mov_b32 v20, 0 :: v_dual_mov_b32 v21, 0
	s_and_not1_b32 vcc_lo, exec_lo, s25
	s_wait_alu 0xfffe
	s_cbranch_vccnz .LBB19_20
; %bb.10:                               ;   in Loop: Header=BB19_9 Depth=1
	s_wait_dscnt 0x1
	v_ashrrev_i32_e32 v9, 31, v0
	v_add_co_u32 v22, vcc_lo, s6, v0
	v_ashrrev_i32_e32 v6, 31, v5
	v_dual_mov_b32 v20, 0 :: v_dual_mov_b32 v21, 0
	s_wait_alu 0xfffd
	v_add_co_ci_u32_e64 v23, null, s7, v9, vcc_lo
	s_mov_b64 s[22:23], s[2:3]
	s_branch .LBB19_13
.LBB19_11:                              ;   in Loop: Header=BB19_13 Depth=2
	s_or_b32 exec_lo, exec_lo, s29
.LBB19_12:                              ;   in Loop: Header=BB19_13 Depth=2
	s_delay_alu instid0(SALU_CYCLE_1)
	s_or_b32 exec_lo, exec_lo, s28
	s_wait_alu 0xfffe
	s_add_nc_u64 s[22:23], s[22:23], 1
	v_add_co_u32 v22, vcc_lo, v22, s20
	s_wait_alu 0xfffe
	v_cmp_ge_i64_e64 s28, s[22:23], s[4:5]
	s_wait_alu 0xfffd
	v_add_co_ci_u32_e64 v23, null, s21, v23, vcc_lo
	s_and_b32 vcc_lo, exec_lo, s28
	s_wait_alu 0xfffe
	s_cbranch_vccnz .LBB19_20
.LBB19_13:                              ;   Parent Loop BB19_9 Depth=1
                                        ; =>  This Loop Header: Depth=2
                                        ;       Child Loop BB19_16 Depth 3
	s_and_saveexec_b32 s28, s0
	s_cbranch_execz .LBB19_12
; %bb.14:                               ;   in Loop: Header=BB19_13 Depth=2
	s_wait_alu 0xfffe
	s_lshl_b64 s[30:31], s[22:23], 2
	v_mad_co_u64_u32 v[9:10], null, s20, s22, v[5:6]
	s_wait_alu 0xfffe
	s_add_nc_u64 s[30:31], s[8:9], s[30:31]
	s_wait_dscnt 0x0
	v_mov_b32_e32 v12, v8
	s_load_b32 s29, s[30:31], 0x0
	s_mul_i32 s30, s21, s22
	s_mul_i32 s31, s20, s23
	v_dual_mov_b32 v24, v15 :: v_dual_mov_b32 v11, v7
	s_wait_alu 0xfffe
	v_add3_u32 v10, s31, s30, v10
	s_wait_kmcnt 0x0
	s_sub_co_i32 s29, s29, s12
	s_delay_alu instid0(SALU_CYCLE_1)
	s_mul_i32 s30, s29, s14
	s_mov_b32 s29, 0
	s_branch .LBB19_16
.LBB19_15:                              ;   in Loop: Header=BB19_16 Depth=3
	v_add_nc_u32_e32 v25, s30, v11
	s_delay_alu instid0(VALU_DEP_2) | instskip(SKIP_1) | instid1(VALU_DEP_3)
	v_lshlrev_b64_e32 v[13:14], 3, v[13:14]
	v_add_nc_u32_e32 v24, s27, v24
	v_ashrrev_i32_e32 v26, 31, v25
	s_delay_alu instid0(VALU_DEP_3) | instskip(SKIP_1) | instid1(VALU_DEP_4)
	v_add_co_u32 v13, vcc_lo, s10, v13
	s_wait_alu 0xfffd
	v_add_co_ci_u32_e64 v14, null, s11, v14, vcc_lo
	s_delay_alu instid0(VALU_DEP_3) | instskip(NEXT) | instid1(VALU_DEP_1)
	v_lshlrev_b64_e32 v[25:26], 3, v[25:26]
	v_add_co_u32 v25, vcc_lo, s18, v25
	s_wait_alu 0xfffd
	s_delay_alu instid0(VALU_DEP_2)
	v_add_co_ci_u32_e64 v26, null, s19, v26, vcc_lo
	global_load_b64 v[13:14], v[13:14], off
	global_load_b64 v[25:26], v[25:26], off
	v_add_co_u32 v11, vcc_lo, v11, 16
	s_wait_alu 0xfffd
	v_add_co_ci_u32_e64 v12, null, 0, v12, vcc_lo
	s_delay_alu instid0(VALU_DEP_2) | instskip(SKIP_4) | instid1(VALU_DEP_2)
	v_cmp_le_i32_e32 vcc_lo, s14, v11
	s_or_b32 s29, vcc_lo, s29
	s_wait_loadcnt 0x0
	v_fmac_f32_e32 v21, v13, v25
	v_fmac_f32_e32 v20, v14, v25
	v_fma_f32 v21, -v14, v26, v21
	s_delay_alu instid0(VALU_DEP_2)
	v_fmac_f32_e32 v20, v13, v26
	s_and_not1_b32 exec_lo, exec_lo, s29
	s_cbranch_execz .LBB19_11
.LBB19_16:                              ;   Parent Loop BB19_9 Depth=1
                                        ;     Parent Loop BB19_13 Depth=2
                                        ; =>    This Inner Loop Header: Depth=3
	s_and_b32 vcc_lo, exec_lo, s15
	s_wait_alu 0xfffe
	s_cbranch_vccz .LBB19_18
; %bb.17:                               ;   in Loop: Header=BB19_16 Depth=3
	v_ashrrev_i32_e32 v14, 31, v24
	v_add_co_u32 v13, vcc_lo, v9, v24
	s_wait_alu 0xfffd
	s_delay_alu instid0(VALU_DEP_2)
	v_add_co_ci_u32_e64 v14, null, v10, v14, vcc_lo
	s_cbranch_execnz .LBB19_15
	s_branch .LBB19_19
.LBB19_18:                              ;   in Loop: Header=BB19_16 Depth=3
                                        ; implicit-def: $vgpr13_vgpr14
.LBB19_19:                              ;   in Loop: Header=BB19_16 Depth=3
	v_add_co_u32 v13, vcc_lo, v22, v11
	s_wait_alu 0xfffd
	v_add_co_ci_u32_e64 v14, null, v23, v12, vcc_lo
	s_branch .LBB19_15
.LBB19_20:                              ;   in Loop: Header=BB19_9 Depth=1
	ds_bpermute_b32 v6, v16, v21
	s_wait_dscnt 0x2
	ds_bpermute_b32 v9, v16, v20
	s_wait_dscnt 0x0
	v_dual_add_f32 v6, v21, v6 :: v_dual_add_f32 v9, v20, v9
	ds_bpermute_b32 v10, v17, v6
	ds_bpermute_b32 v11, v17, v9
	s_wait_dscnt 0x0
	v_dual_add_f32 v6, v6, v10 :: v_dual_add_f32 v9, v9, v11
	ds_bpermute_b32 v10, v18, v6
	ds_bpermute_b32 v11, v18, v9
	s_wait_dscnt 0x1
	v_add_f32_e32 v6, v6, v10
	s_wait_dscnt 0x0
	v_add_f32_e32 v10, v9, v11
	ds_bpermute_b32 v9, v19, v6
	ds_bpermute_b32 v11, v19, v10
	s_and_saveexec_b32 s22, s1
	s_cbranch_execz .LBB19_8
; %bb.21:                               ;   in Loop: Header=BB19_9 Depth=1
	s_wait_dscnt 0x0
	v_dual_add_f32 v10, v10, v11 :: v_dual_add_nc_u32 v11, s26, v5
	v_add_f32_e32 v6, v6, v9
	s_delay_alu instid0(VALU_DEP_2) | instskip(SKIP_1) | instid1(VALU_DEP_4)
	v_mul_f32_e64 v9, v10, -v2
	v_mul_f32_e32 v10, v1, v10
	v_ashrrev_i32_e32 v12, 31, v11
	s_delay_alu instid0(VALU_DEP_3) | instskip(NEXT) | instid1(VALU_DEP_3)
	v_fmac_f32_e32 v9, v1, v6
	v_fmac_f32_e32 v10, v2, v6
	s_and_saveexec_b32 s23, s24
	s_wait_alu 0xfffe
	s_xor_b32 s23, exec_lo, s23
	s_cbranch_execz .LBB19_23
; %bb.22:                               ;   in Loop: Header=BB19_9 Depth=1
	v_lshlrev_b64_e32 v[11:12], 3, v[11:12]
	s_delay_alu instid0(VALU_DEP_1) | instskip(SKIP_1) | instid1(VALU_DEP_2)
	v_add_co_u32 v11, vcc_lo, s16, v11
	s_wait_alu 0xfffd
	v_add_co_ci_u32_e64 v12, null, s17, v12, vcc_lo
	global_store_b64 v[11:12], v[9:10], off
                                        ; implicit-def: $vgpr11
                                        ; implicit-def: $vgpr9
.LBB19_23:                              ;   in Loop: Header=BB19_9 Depth=1
	s_wait_alu 0xfffe
	s_and_not1_saveexec_b32 s23, s23
	s_cbranch_execz .LBB19_8
; %bb.24:                               ;   in Loop: Header=BB19_9 Depth=1
	v_lshlrev_b64_e32 v[11:12], 3, v[11:12]
	s_delay_alu instid0(VALU_DEP_1) | instskip(SKIP_1) | instid1(VALU_DEP_2)
	v_add_co_u32 v11, vcc_lo, s16, v11
	s_wait_alu 0xfffd
	v_add_co_ci_u32_e64 v12, null, s17, v12, vcc_lo
	global_load_b64 v[13:14], v[11:12], off
	s_wait_loadcnt 0x0
	v_fmac_f32_e32 v9, v3, v13
	v_fmac_f32_e32 v10, v4, v13
	s_delay_alu instid0(VALU_DEP_2) | instskip(NEXT) | instid1(VALU_DEP_2)
	v_fma_f32 v9, -v4, v14, v9
	v_fmac_f32_e32 v10, v3, v14
	global_store_b64 v[11:12], v[9:10], off
	s_branch .LBB19_8
.LBB19_25:
	s_endpgm
	.section	.rodata,"a",@progbits
	.p2align	6, 0x0
	.amdhsa_kernel _ZN9rocsparseL22bsrxmvn_general_kernelILj256ELj16E21rocsparse_complex_numIfEliS2_S2_S2_EEv20rocsparse_direction_NS_24const_host_device_scalarIT1_EET3_PKS7_PKT2_SC_S9_PKT4_S7_PKT5_S6_PT6_21rocsparse_index_base_b
		.amdhsa_group_segment_fixed_size 0
		.amdhsa_private_segment_fixed_size 0
		.amdhsa_kernarg_size 104
		.amdhsa_user_sgpr_count 2
		.amdhsa_user_sgpr_dispatch_ptr 0
		.amdhsa_user_sgpr_queue_ptr 0
		.amdhsa_user_sgpr_kernarg_segment_ptr 1
		.amdhsa_user_sgpr_dispatch_id 0
		.amdhsa_user_sgpr_private_segment_size 0
		.amdhsa_wavefront_size32 1
		.amdhsa_uses_dynamic_stack 0
		.amdhsa_enable_private_segment 0
		.amdhsa_system_sgpr_workgroup_id_x 1
		.amdhsa_system_sgpr_workgroup_id_y 0
		.amdhsa_system_sgpr_workgroup_id_z 0
		.amdhsa_system_sgpr_workgroup_info 0
		.amdhsa_system_vgpr_workitem_id 0
		.amdhsa_next_free_vgpr 27
		.amdhsa_next_free_sgpr 32
		.amdhsa_reserve_vcc 1
		.amdhsa_float_round_mode_32 0
		.amdhsa_float_round_mode_16_64 0
		.amdhsa_float_denorm_mode_32 3
		.amdhsa_float_denorm_mode_16_64 3
		.amdhsa_fp16_overflow 0
		.amdhsa_workgroup_processor_mode 1
		.amdhsa_memory_ordered 1
		.amdhsa_forward_progress 1
		.amdhsa_inst_pref_size 12
		.amdhsa_round_robin_scheduling 0
		.amdhsa_exception_fp_ieee_invalid_op 0
		.amdhsa_exception_fp_denorm_src 0
		.amdhsa_exception_fp_ieee_div_zero 0
		.amdhsa_exception_fp_ieee_overflow 0
		.amdhsa_exception_fp_ieee_underflow 0
		.amdhsa_exception_fp_ieee_inexact 0
		.amdhsa_exception_int_div_zero 0
	.end_amdhsa_kernel
	.section	.text._ZN9rocsparseL22bsrxmvn_general_kernelILj256ELj16E21rocsparse_complex_numIfEliS2_S2_S2_EEv20rocsparse_direction_NS_24const_host_device_scalarIT1_EET3_PKS7_PKT2_SC_S9_PKT4_S7_PKT5_S6_PT6_21rocsparse_index_base_b,"axG",@progbits,_ZN9rocsparseL22bsrxmvn_general_kernelILj256ELj16E21rocsparse_complex_numIfEliS2_S2_S2_EEv20rocsparse_direction_NS_24const_host_device_scalarIT1_EET3_PKS7_PKT2_SC_S9_PKT4_S7_PKT5_S6_PT6_21rocsparse_index_base_b,comdat
.Lfunc_end19:
	.size	_ZN9rocsparseL22bsrxmvn_general_kernelILj256ELj16E21rocsparse_complex_numIfEliS2_S2_S2_EEv20rocsparse_direction_NS_24const_host_device_scalarIT1_EET3_PKS7_PKT2_SC_S9_PKT4_S7_PKT5_S6_PT6_21rocsparse_index_base_b, .Lfunc_end19-_ZN9rocsparseL22bsrxmvn_general_kernelILj256ELj16E21rocsparse_complex_numIfEliS2_S2_S2_EEv20rocsparse_direction_NS_24const_host_device_scalarIT1_EET3_PKS7_PKT2_SC_S9_PKT4_S7_PKT5_S6_PT6_21rocsparse_index_base_b
                                        ; -- End function
	.set _ZN9rocsparseL22bsrxmvn_general_kernelILj256ELj16E21rocsparse_complex_numIfEliS2_S2_S2_EEv20rocsparse_direction_NS_24const_host_device_scalarIT1_EET3_PKS7_PKT2_SC_S9_PKT4_S7_PKT5_S6_PT6_21rocsparse_index_base_b.num_vgpr, 27
	.set _ZN9rocsparseL22bsrxmvn_general_kernelILj256ELj16E21rocsparse_complex_numIfEliS2_S2_S2_EEv20rocsparse_direction_NS_24const_host_device_scalarIT1_EET3_PKS7_PKT2_SC_S9_PKT4_S7_PKT5_S6_PT6_21rocsparse_index_base_b.num_agpr, 0
	.set _ZN9rocsparseL22bsrxmvn_general_kernelILj256ELj16E21rocsparse_complex_numIfEliS2_S2_S2_EEv20rocsparse_direction_NS_24const_host_device_scalarIT1_EET3_PKS7_PKT2_SC_S9_PKT4_S7_PKT5_S6_PT6_21rocsparse_index_base_b.numbered_sgpr, 32
	.set _ZN9rocsparseL22bsrxmvn_general_kernelILj256ELj16E21rocsparse_complex_numIfEliS2_S2_S2_EEv20rocsparse_direction_NS_24const_host_device_scalarIT1_EET3_PKS7_PKT2_SC_S9_PKT4_S7_PKT5_S6_PT6_21rocsparse_index_base_b.num_named_barrier, 0
	.set _ZN9rocsparseL22bsrxmvn_general_kernelILj256ELj16E21rocsparse_complex_numIfEliS2_S2_S2_EEv20rocsparse_direction_NS_24const_host_device_scalarIT1_EET3_PKS7_PKT2_SC_S9_PKT4_S7_PKT5_S6_PT6_21rocsparse_index_base_b.private_seg_size, 0
	.set _ZN9rocsparseL22bsrxmvn_general_kernelILj256ELj16E21rocsparse_complex_numIfEliS2_S2_S2_EEv20rocsparse_direction_NS_24const_host_device_scalarIT1_EET3_PKS7_PKT2_SC_S9_PKT4_S7_PKT5_S6_PT6_21rocsparse_index_base_b.uses_vcc, 1
	.set _ZN9rocsparseL22bsrxmvn_general_kernelILj256ELj16E21rocsparse_complex_numIfEliS2_S2_S2_EEv20rocsparse_direction_NS_24const_host_device_scalarIT1_EET3_PKS7_PKT2_SC_S9_PKT4_S7_PKT5_S6_PT6_21rocsparse_index_base_b.uses_flat_scratch, 0
	.set _ZN9rocsparseL22bsrxmvn_general_kernelILj256ELj16E21rocsparse_complex_numIfEliS2_S2_S2_EEv20rocsparse_direction_NS_24const_host_device_scalarIT1_EET3_PKS7_PKT2_SC_S9_PKT4_S7_PKT5_S6_PT6_21rocsparse_index_base_b.has_dyn_sized_stack, 0
	.set _ZN9rocsparseL22bsrxmvn_general_kernelILj256ELj16E21rocsparse_complex_numIfEliS2_S2_S2_EEv20rocsparse_direction_NS_24const_host_device_scalarIT1_EET3_PKS7_PKT2_SC_S9_PKT4_S7_PKT5_S6_PT6_21rocsparse_index_base_b.has_recursion, 0
	.set _ZN9rocsparseL22bsrxmvn_general_kernelILj256ELj16E21rocsparse_complex_numIfEliS2_S2_S2_EEv20rocsparse_direction_NS_24const_host_device_scalarIT1_EET3_PKS7_PKT2_SC_S9_PKT4_S7_PKT5_S6_PT6_21rocsparse_index_base_b.has_indirect_call, 0
	.section	.AMDGPU.csdata,"",@progbits
; Kernel info:
; codeLenInByte = 1448
; TotalNumSgprs: 34
; NumVgprs: 27
; ScratchSize: 0
; MemoryBound: 0
; FloatMode: 240
; IeeeMode: 1
; LDSByteSize: 0 bytes/workgroup (compile time only)
; SGPRBlocks: 0
; VGPRBlocks: 3
; NumSGPRsForWavesPerEU: 34
; NumVGPRsForWavesPerEU: 27
; Occupancy: 16
; WaveLimiterHint : 1
; COMPUTE_PGM_RSRC2:SCRATCH_EN: 0
; COMPUTE_PGM_RSRC2:USER_SGPR: 2
; COMPUTE_PGM_RSRC2:TRAP_HANDLER: 0
; COMPUTE_PGM_RSRC2:TGID_X_EN: 1
; COMPUTE_PGM_RSRC2:TGID_Y_EN: 0
; COMPUTE_PGM_RSRC2:TGID_Z_EN: 0
; COMPUTE_PGM_RSRC2:TIDIG_COMP_CNT: 0
	.section	.text._ZN9rocsparseL22bsrxmvn_general_kernelILj1024ELj32E21rocsparse_complex_numIfEliS2_S2_S2_EEv20rocsparse_direction_NS_24const_host_device_scalarIT1_EET3_PKS7_PKT2_SC_S9_PKT4_S7_PKT5_S6_PT6_21rocsparse_index_base_b,"axG",@progbits,_ZN9rocsparseL22bsrxmvn_general_kernelILj1024ELj32E21rocsparse_complex_numIfEliS2_S2_S2_EEv20rocsparse_direction_NS_24const_host_device_scalarIT1_EET3_PKS7_PKT2_SC_S9_PKT4_S7_PKT5_S6_PT6_21rocsparse_index_base_b,comdat
	.globl	_ZN9rocsparseL22bsrxmvn_general_kernelILj1024ELj32E21rocsparse_complex_numIfEliS2_S2_S2_EEv20rocsparse_direction_NS_24const_host_device_scalarIT1_EET3_PKS7_PKT2_SC_S9_PKT4_S7_PKT5_S6_PT6_21rocsparse_index_base_b ; -- Begin function _ZN9rocsparseL22bsrxmvn_general_kernelILj1024ELj32E21rocsparse_complex_numIfEliS2_S2_S2_EEv20rocsparse_direction_NS_24const_host_device_scalarIT1_EET3_PKS7_PKT2_SC_S9_PKT4_S7_PKT5_S6_PT6_21rocsparse_index_base_b
	.p2align	8
	.type	_ZN9rocsparseL22bsrxmvn_general_kernelILj1024ELj32E21rocsparse_complex_numIfEliS2_S2_S2_EEv20rocsparse_direction_NS_24const_host_device_scalarIT1_EET3_PKS7_PKT2_SC_S9_PKT4_S7_PKT5_S6_PT6_21rocsparse_index_base_b,@function
_ZN9rocsparseL22bsrxmvn_general_kernelILj1024ELj32E21rocsparse_complex_numIfEliS2_S2_S2_EEv20rocsparse_direction_NS_24const_host_device_scalarIT1_EET3_PKS7_PKT2_SC_S9_PKT4_S7_PKT5_S6_PT6_21rocsparse_index_base_b: ; @_ZN9rocsparseL22bsrxmvn_general_kernelILj1024ELj32E21rocsparse_complex_numIfEliS2_S2_S2_EEv20rocsparse_direction_NS_24const_host_device_scalarIT1_EET3_PKS7_PKT2_SC_S9_PKT4_S7_PKT5_S6_PT6_21rocsparse_index_base_b
; %bb.0:
	s_clause 0x2
	s_load_b64 s[12:13], s[0:1], 0x60
	s_load_b64 s[2:3], s[0:1], 0x8
	;; [unrolled: 1-line block ×3, first 2 shown]
	s_add_nc_u64 s[6:7], s[0:1], 8
	s_wait_kmcnt 0x0
	s_bitcmp1_b32 s13, 0
	s_cselect_b32 s2, s6, s2
	s_cselect_b32 s3, s7, s3
	s_delay_alu instid0(SALU_CYCLE_1)
	v_dual_mov_b32 v1, s2 :: v_dual_mov_b32 v2, s3
	s_add_nc_u64 s[2:3], s[0:1], 0x50
	s_wait_alu 0xfffe
	s_cselect_b32 s2, s2, s4
	s_cselect_b32 s3, s3, s5
	flat_load_b64 v[1:2], v[1:2]
	s_wait_alu 0xfffe
	v_dual_mov_b32 v3, s2 :: v_dual_mov_b32 v4, s3
	flat_load_b64 v[3:4], v[3:4]
	s_wait_loadcnt_dscnt 0x101
	v_cmp_eq_f32_e32 vcc_lo, 0, v1
	v_cmp_eq_f32_e64 s2, 0, v2
	s_and_b32 s4, vcc_lo, s2
	s_mov_b32 s2, -1
	s_and_saveexec_b32 s3, s4
	s_cbranch_execz .LBB20_2
; %bb.1:
	s_wait_loadcnt_dscnt 0x0
	v_cmp_neq_f32_e32 vcc_lo, 1.0, v3
	v_cmp_neq_f32_e64 s2, 0, v4
	s_wait_alu 0xfffe
	s_or_b32 s2, vcc_lo, s2
	s_wait_alu 0xfffe
	s_or_not1_b32 s2, s2, exec_lo
.LBB20_2:
	s_wait_alu 0xfffe
	s_or_b32 exec_lo, exec_lo, s3
	s_and_saveexec_b32 s3, s2
	s_cbranch_execz .LBB20_25
; %bb.3:
	s_load_b64 s[2:3], s[0:1], 0x18
	s_wait_kmcnt 0x0
	s_cmp_eq_u64 s[2:3], 0
	s_cbranch_scc1 .LBB20_5
; %bb.4:
	s_mov_b32 s4, ttmp9
	s_ashr_i32 s5, ttmp9, 31
	s_delay_alu instid0(SALU_CYCLE_1) | instskip(NEXT) | instid1(SALU_CYCLE_1)
	s_lshl_b64 s[4:5], s[4:5], 2
	s_add_nc_u64 s[2:3], s[2:3], s[4:5]
	s_load_b32 s2, s[2:3], 0x0
	s_wait_kmcnt 0x0
	s_sub_co_i32 s22, s2, s12
	s_branch .LBB20_6
.LBB20_5:
	s_mov_b32 s22, ttmp9
.LBB20_6:
	s_load_b32 s14, s[0:1], 0x40
	v_lshrrev_b32_e32 v5, 5, v0
	s_wait_kmcnt 0x0
	s_delay_alu instid0(VALU_DEP_1)
	v_cmp_gt_i32_e32 vcc_lo, s14, v5
	s_and_b32 exec_lo, exec_lo, vcc_lo
	s_cbranch_execz .LBB20_25
; %bb.7:
	s_clause 0x2
	s_load_b256 s[4:11], s[0:1], 0x20
	s_load_b64 s[16:17], s[0:1], 0x58
	s_load_b64 s[18:19], s[0:1], 0x48
	v_dual_mov_b32 v6, 0 :: v_dual_and_b32 v7, 31, v0
	v_mbcnt_lo_u32_b32 v0, -1, 0
	s_ashr_i32 s23, s22, 31
	s_load_b32 s3, s[0:1], 0x0
	s_lshl_b64 s[24:25], s[22:23], 3
	s_mov_b32 s13, 0
	v_xor_b32_e32 v8, 16, v0
	v_xor_b32_e32 v9, 8, v0
	;; [unrolled: 1-line block ×5, first 2 shown]
	v_cmp_gt_i32_e64 s1, 32, v8
	v_mul_lo_u32 v19, s14, v5
	v_mul_lo_u32 v20, s14, v7
	s_wait_loadcnt_dscnt 0x0
	v_cmp_eq_f32_e32 vcc_lo, 0, v3
	v_cmp_eq_f32_e64 s2, 0, v4
	s_wait_kmcnt 0x0
	s_add_nc_u64 s[4:5], s[4:5], s[24:25]
	v_cndmask_b32_e64 v8, v0, v8, s1
	v_cmp_gt_i32_e64 s1, 32, v9
	s_add_nc_u64 s[24:25], s[6:7], s[24:25]
	s_cmp_eq_u64 s[6:7], 0
	s_add_nc_u64 s[6:7], s[4:5], 8
	s_mov_b32 s15, s13
	s_cselect_b32 s7, s7, s25
	s_cselect_b32 s6, s6, s24
	s_load_b64 s[26:27], s[4:5], 0x0
	s_load_b64 s[28:29], s[6:7], 0x0
	v_cndmask_b32_e64 v9, v0, v9, s1
	v_cmp_gt_i32_e64 s1, 32, v10
	v_cmp_gt_u32_e64 s0, s14, v7
	s_mul_u64 s[20:21], s[14:15], s[14:15]
	s_cmp_lg_u32 s3, 0
	v_lshlrev_b32_e32 v15, 2, v9
	v_cndmask_b32_e64 v10, v0, v10, s1
	v_cmp_gt_i32_e64 s1, 32, v11
	s_cselect_b32 s15, -1, 0
	s_and_b32 s24, vcc_lo, s2
	v_lshlrev_b32_e32 v16, 2, v10
	v_cndmask_b32_e64 v11, v0, v11, s1
	v_cmp_gt_i32_e64 s1, 32, v12
	s_delay_alu instid0(VALU_DEP_2) | instskip(SKIP_1) | instid1(VALU_DEP_2)
	v_lshlrev_b32_e32 v17, 2, v11
	s_wait_alu 0xf1ff
	v_cndmask_b32_e64 v12, v0, v12, s1
	s_wait_kmcnt 0x0
	v_cmp_lt_i64_e64 s25, s[26:27], s[28:29]
	v_lshlrev_b32_e32 v0, 2, v8
	v_cmp_eq_u32_e64 s1, 31, v7
	v_mov_b32_e32 v8, v6
	v_lshlrev_b32_e32 v18, 2, v12
	s_sub_nc_u64 s[4:5], s[26:27], s[12:13]
	s_sub_nc_u64 s[6:7], s[28:29], s[12:13]
	s_mul_i32 s26, s22, s14
	s_mul_u64 s[2:3], s[4:5], s[20:21]
	s_lshl_b32 s27, s14, 5
	s_branch .LBB20_9
.LBB20_8:                               ;   in Loop: Header=BB20_9 Depth=1
	s_wait_alu 0xfffe
	s_or_b32 exec_lo, exec_lo, s22
	v_add_nc_u32_e32 v5, 32, v5
	v_add_nc_u32_e32 v19, s27, v19
	s_delay_alu instid0(VALU_DEP_2) | instskip(SKIP_1) | instid1(SALU_CYCLE_1)
	v_cmp_le_i32_e32 vcc_lo, s14, v5
	s_or_b32 s13, vcc_lo, s13
	s_and_not1_b32 exec_lo, exec_lo, s13
	s_cbranch_execz .LBB20_25
.LBB20_9:                               ; =>This Loop Header: Depth=1
                                        ;     Child Loop BB20_13 Depth 2
                                        ;       Child Loop BB20_16 Depth 3
	v_dual_mov_b32 v21, 0 :: v_dual_mov_b32 v22, 0
	s_and_not1_b32 vcc_lo, exec_lo, s25
	s_wait_alu 0xfffe
	s_cbranch_vccnz .LBB20_20
; %bb.10:                               ;   in Loop: Header=BB20_9 Depth=1
	v_ashrrev_i32_e32 v9, 31, v19
	v_add_co_u32 v23, vcc_lo, s2, v19
	v_dual_mov_b32 v21, 0 :: v_dual_mov_b32 v22, 0
	s_wait_alu 0xfffd
	s_delay_alu instid0(VALU_DEP_3)
	v_add_co_ci_u32_e64 v24, null, s3, v9, vcc_lo
	s_mov_b64 s[22:23], s[4:5]
	s_branch .LBB20_13
.LBB20_11:                              ;   in Loop: Header=BB20_13 Depth=2
	s_or_b32 exec_lo, exec_lo, s29
.LBB20_12:                              ;   in Loop: Header=BB20_13 Depth=2
	s_wait_alu 0xfffe
	s_or_b32 exec_lo, exec_lo, s28
	s_add_nc_u64 s[22:23], s[22:23], 1
	v_add_co_u32 v23, vcc_lo, v23, s20
	s_wait_alu 0xfffe
	v_cmp_ge_i64_e64 s28, s[22:23], s[6:7]
	s_wait_alu 0xfffd
	v_add_co_ci_u32_e64 v24, null, s21, v24, vcc_lo
	s_and_b32 vcc_lo, exec_lo, s28
	s_wait_alu 0xfffe
	s_cbranch_vccnz .LBB20_20
.LBB20_13:                              ;   Parent Loop BB20_9 Depth=1
                                        ; =>  This Loop Header: Depth=2
                                        ;       Child Loop BB20_16 Depth 3
	s_and_saveexec_b32 s28, s0
	s_cbranch_execz .LBB20_12
; %bb.14:                               ;   in Loop: Header=BB20_13 Depth=2
	s_wait_alu 0xfffe
	s_lshl_b64 s[30:31], s[22:23], 2
	s_wait_dscnt 0x1
	v_mad_co_u64_u32 v[9:10], null, s20, s22, v[5:6]
	s_wait_alu 0xfffe
	s_add_nc_u64 s[30:31], s[8:9], s[30:31]
	s_wait_dscnt 0x0
	v_dual_mov_b32 v25, v20 :: v_dual_mov_b32 v12, v8
	s_load_b32 s29, s[30:31], 0x0
	s_mul_i32 s30, s21, s22
	s_mul_i32 s31, s20, s23
	v_mov_b32_e32 v11, v7
	s_wait_alu 0xfffe
	v_add3_u32 v10, s31, s30, v10
	s_wait_kmcnt 0x0
	s_sub_co_i32 s29, s29, s12
	s_wait_alu 0xfffe
	s_mul_i32 s30, s29, s14
	s_mov_b32 s29, 0
	s_branch .LBB20_16
.LBB20_15:                              ;   in Loop: Header=BB20_16 Depth=3
	v_add_nc_u32_e32 v26, s30, v11
	s_delay_alu instid0(VALU_DEP_2) | instskip(SKIP_1) | instid1(VALU_DEP_3)
	v_lshlrev_b64_e32 v[13:14], 3, v[13:14]
	v_add_nc_u32_e32 v25, s27, v25
	v_ashrrev_i32_e32 v27, 31, v26
	s_delay_alu instid0(VALU_DEP_3) | instskip(SKIP_1) | instid1(VALU_DEP_4)
	v_add_co_u32 v13, vcc_lo, s10, v13
	s_wait_alu 0xfffd
	v_add_co_ci_u32_e64 v14, null, s11, v14, vcc_lo
	s_delay_alu instid0(VALU_DEP_3) | instskip(NEXT) | instid1(VALU_DEP_1)
	v_lshlrev_b64_e32 v[26:27], 3, v[26:27]
	v_add_co_u32 v26, vcc_lo, s18, v26
	s_wait_alu 0xfffd
	s_delay_alu instid0(VALU_DEP_2)
	v_add_co_ci_u32_e64 v27, null, s19, v27, vcc_lo
	global_load_b64 v[13:14], v[13:14], off
	global_load_b64 v[26:27], v[26:27], off
	v_add_co_u32 v11, vcc_lo, v11, 32
	s_wait_alu 0xfffd
	v_add_co_ci_u32_e64 v12, null, 0, v12, vcc_lo
	s_delay_alu instid0(VALU_DEP_2) | instskip(SKIP_4) | instid1(VALU_DEP_2)
	v_cmp_le_i32_e32 vcc_lo, s14, v11
	s_or_b32 s29, vcc_lo, s29
	s_wait_loadcnt 0x0
	v_fmac_f32_e32 v22, v13, v26
	v_fmac_f32_e32 v21, v14, v26
	v_fma_f32 v22, -v14, v27, v22
	s_delay_alu instid0(VALU_DEP_2)
	v_fmac_f32_e32 v21, v13, v27
	s_wait_alu 0xfffe
	s_and_not1_b32 exec_lo, exec_lo, s29
	s_cbranch_execz .LBB20_11
.LBB20_16:                              ;   Parent Loop BB20_9 Depth=1
                                        ;     Parent Loop BB20_13 Depth=2
                                        ; =>    This Inner Loop Header: Depth=3
	s_and_b32 vcc_lo, exec_lo, s15
	s_wait_alu 0xfffe
	s_cbranch_vccz .LBB20_18
; %bb.17:                               ;   in Loop: Header=BB20_16 Depth=3
	v_ashrrev_i32_e32 v14, 31, v25
	v_add_co_u32 v13, vcc_lo, v9, v25
	s_wait_alu 0xfffd
	s_delay_alu instid0(VALU_DEP_2)
	v_add_co_ci_u32_e64 v14, null, v10, v14, vcc_lo
	s_cbranch_execnz .LBB20_15
	s_branch .LBB20_19
.LBB20_18:                              ;   in Loop: Header=BB20_16 Depth=3
                                        ; implicit-def: $vgpr13_vgpr14
.LBB20_19:                              ;   in Loop: Header=BB20_16 Depth=3
	v_add_co_u32 v13, vcc_lo, v23, v11
	s_wait_alu 0xfffd
	v_add_co_ci_u32_e64 v14, null, v24, v12, vcc_lo
	s_branch .LBB20_15
.LBB20_20:                              ;   in Loop: Header=BB20_9 Depth=1
	ds_bpermute_b32 v9, v0, v22
	s_wait_dscnt 0x2
	ds_bpermute_b32 v10, v0, v21
	s_wait_dscnt 0x0
	v_dual_add_f32 v9, v22, v9 :: v_dual_add_f32 v10, v21, v10
	ds_bpermute_b32 v11, v15, v9
	ds_bpermute_b32 v12, v15, v10
	s_wait_dscnt 0x0
	v_dual_add_f32 v9, v9, v11 :: v_dual_add_f32 v10, v10, v12
	ds_bpermute_b32 v11, v16, v9
	;; [unrolled: 4-line block ×3, first 2 shown]
	ds_bpermute_b32 v12, v17, v10
	s_wait_dscnt 0x1
	v_add_f32_e32 v9, v9, v11
	s_wait_dscnt 0x0
	v_add_f32_e32 v11, v10, v12
	ds_bpermute_b32 v10, v18, v9
	ds_bpermute_b32 v12, v18, v11
	s_and_saveexec_b32 s22, s1
	s_cbranch_execz .LBB20_8
; %bb.21:                               ;   in Loop: Header=BB20_9 Depth=1
	s_wait_dscnt 0x0
	v_dual_add_f32 v11, v11, v12 :: v_dual_add_f32 v12, v9, v10
	s_delay_alu instid0(VALU_DEP_1) | instskip(SKIP_2) | instid1(VALU_DEP_2)
	v_mul_f32_e64 v9, v11, -v2
	s_wait_alu 0xfffe
	v_dual_mul_f32 v10, v1, v11 :: v_dual_add_nc_u32 v11, s26, v5
	v_fmac_f32_e32 v9, v1, v12
	s_delay_alu instid0(VALU_DEP_2) | instskip(NEXT) | instid1(VALU_DEP_3)
	v_fmac_f32_e32 v10, v2, v12
	v_ashrrev_i32_e32 v12, 31, v11
	s_and_saveexec_b32 s23, s24
	s_wait_alu 0xfffe
	s_xor_b32 s23, exec_lo, s23
	s_cbranch_execz .LBB20_23
; %bb.22:                               ;   in Loop: Header=BB20_9 Depth=1
	v_lshlrev_b64_e32 v[11:12], 3, v[11:12]
	s_delay_alu instid0(VALU_DEP_1) | instskip(SKIP_1) | instid1(VALU_DEP_2)
	v_add_co_u32 v11, vcc_lo, s16, v11
	s_wait_alu 0xfffd
	v_add_co_ci_u32_e64 v12, null, s17, v12, vcc_lo
	global_store_b64 v[11:12], v[9:10], off
                                        ; implicit-def: $vgpr11
                                        ; implicit-def: $vgpr9
.LBB20_23:                              ;   in Loop: Header=BB20_9 Depth=1
	s_wait_alu 0xfffe
	s_and_not1_saveexec_b32 s23, s23
	s_cbranch_execz .LBB20_8
; %bb.24:                               ;   in Loop: Header=BB20_9 Depth=1
	v_lshlrev_b64_e32 v[11:12], 3, v[11:12]
	s_delay_alu instid0(VALU_DEP_1) | instskip(SKIP_1) | instid1(VALU_DEP_2)
	v_add_co_u32 v11, vcc_lo, s16, v11
	s_wait_alu 0xfffd
	v_add_co_ci_u32_e64 v12, null, s17, v12, vcc_lo
	global_load_b64 v[13:14], v[11:12], off
	s_wait_loadcnt 0x0
	v_fmac_f32_e32 v9, v3, v13
	v_fmac_f32_e32 v10, v4, v13
	s_delay_alu instid0(VALU_DEP_2) | instskip(NEXT) | instid1(VALU_DEP_2)
	v_fma_f32 v9, -v4, v14, v9
	v_fmac_f32_e32 v10, v3, v14
	global_store_b64 v[11:12], v[9:10], off
	s_branch .LBB20_8
.LBB20_25:
	s_endpgm
	.section	.rodata,"a",@progbits
	.p2align	6, 0x0
	.amdhsa_kernel _ZN9rocsparseL22bsrxmvn_general_kernelILj1024ELj32E21rocsparse_complex_numIfEliS2_S2_S2_EEv20rocsparse_direction_NS_24const_host_device_scalarIT1_EET3_PKS7_PKT2_SC_S9_PKT4_S7_PKT5_S6_PT6_21rocsparse_index_base_b
		.amdhsa_group_segment_fixed_size 0
		.amdhsa_private_segment_fixed_size 0
		.amdhsa_kernarg_size 104
		.amdhsa_user_sgpr_count 2
		.amdhsa_user_sgpr_dispatch_ptr 0
		.amdhsa_user_sgpr_queue_ptr 0
		.amdhsa_user_sgpr_kernarg_segment_ptr 1
		.amdhsa_user_sgpr_dispatch_id 0
		.amdhsa_user_sgpr_private_segment_size 0
		.amdhsa_wavefront_size32 1
		.amdhsa_uses_dynamic_stack 0
		.amdhsa_enable_private_segment 0
		.amdhsa_system_sgpr_workgroup_id_x 1
		.amdhsa_system_sgpr_workgroup_id_y 0
		.amdhsa_system_sgpr_workgroup_id_z 0
		.amdhsa_system_sgpr_workgroup_info 0
		.amdhsa_system_vgpr_workitem_id 0
		.amdhsa_next_free_vgpr 28
		.amdhsa_next_free_sgpr 32
		.amdhsa_reserve_vcc 1
		.amdhsa_float_round_mode_32 0
		.amdhsa_float_round_mode_16_64 0
		.amdhsa_float_denorm_mode_32 3
		.amdhsa_float_denorm_mode_16_64 3
		.amdhsa_fp16_overflow 0
		.amdhsa_workgroup_processor_mode 1
		.amdhsa_memory_ordered 1
		.amdhsa_forward_progress 1
		.amdhsa_inst_pref_size 12
		.amdhsa_round_robin_scheduling 0
		.amdhsa_exception_fp_ieee_invalid_op 0
		.amdhsa_exception_fp_denorm_src 0
		.amdhsa_exception_fp_ieee_div_zero 0
		.amdhsa_exception_fp_ieee_overflow 0
		.amdhsa_exception_fp_ieee_underflow 0
		.amdhsa_exception_fp_ieee_inexact 0
		.amdhsa_exception_int_div_zero 0
	.end_amdhsa_kernel
	.section	.text._ZN9rocsparseL22bsrxmvn_general_kernelILj1024ELj32E21rocsparse_complex_numIfEliS2_S2_S2_EEv20rocsparse_direction_NS_24const_host_device_scalarIT1_EET3_PKS7_PKT2_SC_S9_PKT4_S7_PKT5_S6_PT6_21rocsparse_index_base_b,"axG",@progbits,_ZN9rocsparseL22bsrxmvn_general_kernelILj1024ELj32E21rocsparse_complex_numIfEliS2_S2_S2_EEv20rocsparse_direction_NS_24const_host_device_scalarIT1_EET3_PKS7_PKT2_SC_S9_PKT4_S7_PKT5_S6_PT6_21rocsparse_index_base_b,comdat
.Lfunc_end20:
	.size	_ZN9rocsparseL22bsrxmvn_general_kernelILj1024ELj32E21rocsparse_complex_numIfEliS2_S2_S2_EEv20rocsparse_direction_NS_24const_host_device_scalarIT1_EET3_PKS7_PKT2_SC_S9_PKT4_S7_PKT5_S6_PT6_21rocsparse_index_base_b, .Lfunc_end20-_ZN9rocsparseL22bsrxmvn_general_kernelILj1024ELj32E21rocsparse_complex_numIfEliS2_S2_S2_EEv20rocsparse_direction_NS_24const_host_device_scalarIT1_EET3_PKS7_PKT2_SC_S9_PKT4_S7_PKT5_S6_PT6_21rocsparse_index_base_b
                                        ; -- End function
	.set _ZN9rocsparseL22bsrxmvn_general_kernelILj1024ELj32E21rocsparse_complex_numIfEliS2_S2_S2_EEv20rocsparse_direction_NS_24const_host_device_scalarIT1_EET3_PKS7_PKT2_SC_S9_PKT4_S7_PKT5_S6_PT6_21rocsparse_index_base_b.num_vgpr, 28
	.set _ZN9rocsparseL22bsrxmvn_general_kernelILj1024ELj32E21rocsparse_complex_numIfEliS2_S2_S2_EEv20rocsparse_direction_NS_24const_host_device_scalarIT1_EET3_PKS7_PKT2_SC_S9_PKT4_S7_PKT5_S6_PT6_21rocsparse_index_base_b.num_agpr, 0
	.set _ZN9rocsparseL22bsrxmvn_general_kernelILj1024ELj32E21rocsparse_complex_numIfEliS2_S2_S2_EEv20rocsparse_direction_NS_24const_host_device_scalarIT1_EET3_PKS7_PKT2_SC_S9_PKT4_S7_PKT5_S6_PT6_21rocsparse_index_base_b.numbered_sgpr, 32
	.set _ZN9rocsparseL22bsrxmvn_general_kernelILj1024ELj32E21rocsparse_complex_numIfEliS2_S2_S2_EEv20rocsparse_direction_NS_24const_host_device_scalarIT1_EET3_PKS7_PKT2_SC_S9_PKT4_S7_PKT5_S6_PT6_21rocsparse_index_base_b.num_named_barrier, 0
	.set _ZN9rocsparseL22bsrxmvn_general_kernelILj1024ELj32E21rocsparse_complex_numIfEliS2_S2_S2_EEv20rocsparse_direction_NS_24const_host_device_scalarIT1_EET3_PKS7_PKT2_SC_S9_PKT4_S7_PKT5_S6_PT6_21rocsparse_index_base_b.private_seg_size, 0
	.set _ZN9rocsparseL22bsrxmvn_general_kernelILj1024ELj32E21rocsparse_complex_numIfEliS2_S2_S2_EEv20rocsparse_direction_NS_24const_host_device_scalarIT1_EET3_PKS7_PKT2_SC_S9_PKT4_S7_PKT5_S6_PT6_21rocsparse_index_base_b.uses_vcc, 1
	.set _ZN9rocsparseL22bsrxmvn_general_kernelILj1024ELj32E21rocsparse_complex_numIfEliS2_S2_S2_EEv20rocsparse_direction_NS_24const_host_device_scalarIT1_EET3_PKS7_PKT2_SC_S9_PKT4_S7_PKT5_S6_PT6_21rocsparse_index_base_b.uses_flat_scratch, 0
	.set _ZN9rocsparseL22bsrxmvn_general_kernelILj1024ELj32E21rocsparse_complex_numIfEliS2_S2_S2_EEv20rocsparse_direction_NS_24const_host_device_scalarIT1_EET3_PKS7_PKT2_SC_S9_PKT4_S7_PKT5_S6_PT6_21rocsparse_index_base_b.has_dyn_sized_stack, 0
	.set _ZN9rocsparseL22bsrxmvn_general_kernelILj1024ELj32E21rocsparse_complex_numIfEliS2_S2_S2_EEv20rocsparse_direction_NS_24const_host_device_scalarIT1_EET3_PKS7_PKT2_SC_S9_PKT4_S7_PKT5_S6_PT6_21rocsparse_index_base_b.has_recursion, 0
	.set _ZN9rocsparseL22bsrxmvn_general_kernelILj1024ELj32E21rocsparse_complex_numIfEliS2_S2_S2_EEv20rocsparse_direction_NS_24const_host_device_scalarIT1_EET3_PKS7_PKT2_SC_S9_PKT4_S7_PKT5_S6_PT6_21rocsparse_index_base_b.has_indirect_call, 0
	.section	.AMDGPU.csdata,"",@progbits
; Kernel info:
; codeLenInByte = 1496
; TotalNumSgprs: 34
; NumVgprs: 28
; ScratchSize: 0
; MemoryBound: 0
; FloatMode: 240
; IeeeMode: 1
; LDSByteSize: 0 bytes/workgroup (compile time only)
; SGPRBlocks: 0
; VGPRBlocks: 3
; NumSGPRsForWavesPerEU: 34
; NumVGPRsForWavesPerEU: 28
; Occupancy: 16
; WaveLimiterHint : 1
; COMPUTE_PGM_RSRC2:SCRATCH_EN: 0
; COMPUTE_PGM_RSRC2:USER_SGPR: 2
; COMPUTE_PGM_RSRC2:TRAP_HANDLER: 0
; COMPUTE_PGM_RSRC2:TGID_X_EN: 1
; COMPUTE_PGM_RSRC2:TGID_Y_EN: 0
; COMPUTE_PGM_RSRC2:TGID_Z_EN: 0
; COMPUTE_PGM_RSRC2:TIDIG_COMP_CNT: 0
	.section	.text._ZN9rocsparseL22bsrxmvn_general_kernelILj64ELj8E21rocsparse_complex_numIdEliS2_S2_S2_EEv20rocsparse_direction_NS_24const_host_device_scalarIT1_EET3_PKS7_PKT2_SC_S9_PKT4_S7_PKT5_S6_PT6_21rocsparse_index_base_b,"axG",@progbits,_ZN9rocsparseL22bsrxmvn_general_kernelILj64ELj8E21rocsparse_complex_numIdEliS2_S2_S2_EEv20rocsparse_direction_NS_24const_host_device_scalarIT1_EET3_PKS7_PKT2_SC_S9_PKT4_S7_PKT5_S6_PT6_21rocsparse_index_base_b,comdat
	.globl	_ZN9rocsparseL22bsrxmvn_general_kernelILj64ELj8E21rocsparse_complex_numIdEliS2_S2_S2_EEv20rocsparse_direction_NS_24const_host_device_scalarIT1_EET3_PKS7_PKT2_SC_S9_PKT4_S7_PKT5_S6_PT6_21rocsparse_index_base_b ; -- Begin function _ZN9rocsparseL22bsrxmvn_general_kernelILj64ELj8E21rocsparse_complex_numIdEliS2_S2_S2_EEv20rocsparse_direction_NS_24const_host_device_scalarIT1_EET3_PKS7_PKT2_SC_S9_PKT4_S7_PKT5_S6_PT6_21rocsparse_index_base_b
	.p2align	8
	.type	_ZN9rocsparseL22bsrxmvn_general_kernelILj64ELj8E21rocsparse_complex_numIdEliS2_S2_S2_EEv20rocsparse_direction_NS_24const_host_device_scalarIT1_EET3_PKS7_PKT2_SC_S9_PKT4_S7_PKT5_S6_PT6_21rocsparse_index_base_b,@function
_ZN9rocsparseL22bsrxmvn_general_kernelILj64ELj8E21rocsparse_complex_numIdEliS2_S2_S2_EEv20rocsparse_direction_NS_24const_host_device_scalarIT1_EET3_PKS7_PKT2_SC_S9_PKT4_S7_PKT5_S6_PT6_21rocsparse_index_base_b: ; @_ZN9rocsparseL22bsrxmvn_general_kernelILj64ELj8E21rocsparse_complex_numIdEliS2_S2_S2_EEv20rocsparse_direction_NS_24const_host_device_scalarIT1_EET3_PKS7_PKT2_SC_S9_PKT4_S7_PKT5_S6_PT6_21rocsparse_index_base_b
; %bb.0:
	s_clause 0x1
	s_load_b64 s[12:13], s[0:1], 0x70
	s_load_b64 s[2:3], s[0:1], 0x8
	s_add_nc_u64 s[4:5], s[0:1], 8
	s_load_b64 s[6:7], s[0:1], 0x58
	s_wait_kmcnt 0x0
	s_bitcmp1_b32 s13, 0
	s_cselect_b32 s2, s4, s2
	s_cselect_b32 s3, s5, s3
	s_delay_alu instid0(SALU_CYCLE_1)
	v_dual_mov_b32 v1, s2 :: v_dual_mov_b32 v2, s3
	s_add_nc_u64 s[2:3], s[0:1], 0x58
	s_wait_alu 0xfffe
	s_cselect_b32 s2, s2, s6
	s_cselect_b32 s3, s3, s7
	flat_load_b128 v[1:4], v[1:2]
	s_wait_alu 0xfffe
	v_dual_mov_b32 v5, s2 :: v_dual_mov_b32 v6, s3
	flat_load_b128 v[5:8], v[5:6]
	s_wait_loadcnt_dscnt 0x101
	v_cmp_eq_f64_e32 vcc_lo, 0, v[1:2]
	v_cmp_eq_f64_e64 s2, 0, v[3:4]
	s_and_b32 s4, vcc_lo, s2
	s_mov_b32 s2, -1
	s_and_saveexec_b32 s3, s4
	s_cbranch_execz .LBB21_2
; %bb.1:
	s_wait_loadcnt_dscnt 0x0
	v_cmp_neq_f64_e32 vcc_lo, 1.0, v[5:6]
	v_cmp_neq_f64_e64 s2, 0, v[7:8]
	s_wait_alu 0xfffe
	s_or_b32 s2, vcc_lo, s2
	s_wait_alu 0xfffe
	s_or_not1_b32 s2, s2, exec_lo
.LBB21_2:
	s_wait_alu 0xfffe
	s_or_b32 exec_lo, exec_lo, s3
	s_and_saveexec_b32 s3, s2
	s_cbranch_execz .LBB21_25
; %bb.3:
	s_load_b64 s[2:3], s[0:1], 0x20
	s_wait_kmcnt 0x0
	s_cmp_eq_u64 s[2:3], 0
	s_cbranch_scc1 .LBB21_5
; %bb.4:
	s_mov_b32 s4, ttmp9
	s_ashr_i32 s5, ttmp9, 31
	s_delay_alu instid0(SALU_CYCLE_1) | instskip(NEXT) | instid1(SALU_CYCLE_1)
	s_lshl_b64 s[4:5], s[4:5], 2
	s_add_nc_u64 s[2:3], s[2:3], s[4:5]
	s_load_b32 s2, s[2:3], 0x0
	s_wait_kmcnt 0x0
	s_sub_co_i32 s20, s2, s12
	s_branch .LBB21_6
.LBB21_5:
	s_mov_b32 s20, ttmp9
.LBB21_6:
	s_load_b32 s14, s[0:1], 0x48
	v_lshrrev_b32_e32 v13, 3, v0
	s_wait_kmcnt 0x0
	s_delay_alu instid0(VALU_DEP_1)
	v_cmp_gt_i32_e32 vcc_lo, s14, v13
	s_and_b32 exec_lo, exec_lo, vcc_lo
	s_cbranch_execz .LBB21_25
; %bb.7:
	s_load_b256 s[4:11], s[0:1], 0x28
	s_wait_loadcnt_dscnt 0x0
	v_cmp_eq_f64_e32 vcc_lo, 0, v[5:6]
	v_cmp_eq_f64_e64 s2, 0, v[7:8]
	s_ashr_i32 s21, s20, 31
	v_mbcnt_lo_u32_b32 v9, -1, 0
	s_clause 0x2
	s_load_b64 s[16:17], s[0:1], 0x68
	s_load_b64 s[18:19], s[0:1], 0x50
	s_load_b32 s24, s[0:1], 0x0
	s_lshl_b64 s[0:1], s[20:21], 3
	v_dual_mov_b32 v16, 0 :: v_dual_and_b32 v15, 7, v0
	v_xor_b32_e32 v10, 4, v9
	v_xor_b32_e32 v11, 2, v9
	;; [unrolled: 1-line block ×3, first 2 shown]
	s_mov_b32 s13, 0
	v_mul_lo_u32 v0, s14, v13
	v_cmp_gt_i32_e64 s3, 32, v10
	v_mul_lo_u32 v23, s14, v15
	s_mov_b32 s15, s13
	s_wait_alu 0xf1ff
	v_cndmask_b32_e64 v10, v9, v10, s3
	s_wait_kmcnt 0x0
	s_add_nc_u64 s[22:23], s[4:5], s[0:1]
	s_add_nc_u64 s[0:1], s[6:7], s[0:1]
	s_cmp_eq_u64 s[6:7], 0
	s_add_nc_u64 s[6:7], s[22:23], 8
	v_cmp_gt_i32_e64 s3, 32, v11
	s_cselect_b32 s1, s7, s1
	s_cselect_b32 s0, s6, s0
	s_load_b64 s[22:23], s[22:23], 0x0
	s_load_b64 s[26:27], s[0:1], 0x0
	s_cmp_lg_u32 s24, 0
	v_cndmask_b32_e64 v11, v9, v11, s3
	v_cmp_gt_i32_e64 s3, 32, v12
	v_cmp_gt_u32_e64 s0, s14, v15
	v_cmp_eq_u32_e64 s1, 7, v15
	v_lshlrev_b32_e32 v24, 2, v10
	v_lshlrev_b32_e32 v25, 2, v11
	s_wait_alu 0xf1ff
	v_cndmask_b32_e64 v9, v9, v12, s3
	s_mul_u64 s[4:5], s[14:15], s[14:15]
	s_cselect_b32 s15, -1, 0
	s_and_b32 s24, vcc_lo, s2
	s_delay_alu instid0(VALU_DEP_1)
	v_lshlrev_b32_e32 v26, 2, v9
	s_wait_kmcnt 0x0
	s_sub_nc_u64 s[2:3], s[22:23], s[12:13]
	v_cmp_lt_i64_e64 s25, s[22:23], s[26:27]
	s_sub_nc_u64 s[6:7], s[26:27], s[12:13]
	s_mul_i32 s26, s20, s14
	s_wait_alu 0xfffe
	s_mul_u64 s[20:21], s[2:3], s[4:5]
	s_lshl_b32 s27, s14, 3
	s_branch .LBB21_9
.LBB21_8:                               ;   in Loop: Header=BB21_9 Depth=1
	s_wait_alu 0xfffe
	s_or_b32 exec_lo, exec_lo, s22
	v_add_nc_u32_e32 v13, 8, v13
	v_add_nc_u32_e32 v0, s27, v0
	s_delay_alu instid0(VALU_DEP_2) | instskip(SKIP_1) | instid1(SALU_CYCLE_1)
	v_cmp_le_i32_e32 vcc_lo, s14, v13
	s_or_b32 s13, vcc_lo, s13
	s_and_not1_b32 exec_lo, exec_lo, s13
	s_cbranch_execz .LBB21_25
.LBB21_9:                               ; =>This Loop Header: Depth=1
                                        ;     Child Loop BB21_13 Depth 2
                                        ;       Child Loop BB21_16 Depth 3
	v_mov_b32_e32 v9, 0
	v_dual_mov_b32 v10, 0 :: v_dual_mov_b32 v11, 0
	v_mov_b32_e32 v12, 0
	s_and_not1_b32 vcc_lo, exec_lo, s25
	s_wait_alu 0xfffe
	s_cbranch_vccnz .LBB21_20
; %bb.10:                               ;   in Loop: Header=BB21_9 Depth=1
	v_ashrrev_i32_e32 v11, 31, v0
	v_add_co_u32 v27, vcc_lo, s20, v0
	v_mov_b32_e32 v9, 0
	v_mov_b32_e32 v10, 0
	s_wait_alu 0xfffd
	v_add_co_ci_u32_e64 v28, null, s21, v11, vcc_lo
	v_mov_b32_e32 v11, 0
	v_mov_b32_e32 v12, 0
	v_ashrrev_i32_e32 v14, 31, v13
	s_mov_b64 s[22:23], s[2:3]
	s_branch .LBB21_13
.LBB21_11:                              ;   in Loop: Header=BB21_13 Depth=2
	s_or_b32 exec_lo, exec_lo, s29
.LBB21_12:                              ;   in Loop: Header=BB21_13 Depth=2
	s_delay_alu instid0(SALU_CYCLE_1)
	s_or_b32 exec_lo, exec_lo, s28
	s_wait_alu 0xfffe
	s_add_nc_u64 s[22:23], s[22:23], 1
	v_add_co_u32 v27, vcc_lo, v27, s4
	s_wait_alu 0xfffe
	v_cmp_ge_i64_e64 s28, s[22:23], s[6:7]
	s_wait_alu 0xfffd
	v_add_co_ci_u32_e64 v28, null, s5, v28, vcc_lo
	s_and_b32 vcc_lo, exec_lo, s28
	s_wait_alu 0xfffe
	s_cbranch_vccnz .LBB21_20
.LBB21_13:                              ;   Parent Loop BB21_9 Depth=1
                                        ; =>  This Loop Header: Depth=2
                                        ;       Child Loop BB21_16 Depth 3
	s_and_saveexec_b32 s28, s0
	s_cbranch_execz .LBB21_12
; %bb.14:                               ;   in Loop: Header=BB21_13 Depth=2
	s_wait_alu 0xfffe
	s_lshl_b64 s[30:31], s[22:23], 2
	s_wait_dscnt 0x2
	v_mad_co_u64_u32 v[17:18], null, s4, s22, v[13:14]
	s_wait_alu 0xfffe
	s_add_nc_u64 s[30:31], s[8:9], s[30:31]
	s_wait_dscnt 0x0
	v_dual_mov_b32 v29, v23 :: v_dual_mov_b32 v20, v16
	s_load_b32 s29, s[30:31], 0x0
	s_mul_i32 s30, s5, s22
	s_mul_i32 s31, s4, s23
	v_mov_b32_e32 v19, v15
	s_wait_alu 0xfffe
	v_add3_u32 v18, s31, s30, v18
	s_wait_kmcnt 0x0
	s_sub_co_i32 s29, s29, s12
	s_delay_alu instid0(SALU_CYCLE_1)
	s_mul_i32 s30, s29, s14
	s_mov_b32 s29, 0
	s_branch .LBB21_16
.LBB21_15:                              ;   in Loop: Header=BB21_16 Depth=3
	v_add_nc_u32_e32 v30, s30, v19
	s_delay_alu instid0(VALU_DEP_2) | instskip(SKIP_1) | instid1(VALU_DEP_3)
	v_lshlrev_b64_e32 v[21:22], 4, v[21:22]
	v_add_nc_u32_e32 v29, s27, v29
	v_ashrrev_i32_e32 v31, 31, v30
	s_delay_alu instid0(VALU_DEP_3) | instskip(SKIP_1) | instid1(VALU_DEP_4)
	v_add_co_u32 v21, vcc_lo, s10, v21
	s_wait_alu 0xfffd
	v_add_co_ci_u32_e64 v22, null, s11, v22, vcc_lo
	s_delay_alu instid0(VALU_DEP_3) | instskip(NEXT) | instid1(VALU_DEP_1)
	v_lshlrev_b64_e32 v[30:31], 4, v[30:31]
	v_add_co_u32 v34, vcc_lo, s18, v30
	s_wait_alu 0xfffd
	s_delay_alu instid0(VALU_DEP_2)
	v_add_co_ci_u32_e64 v35, null, s19, v31, vcc_lo
	v_add_co_u32 v19, vcc_lo, v19, 8
	global_load_b128 v[30:33], v[21:22], off
	global_load_b128 v[34:37], v[34:35], off
	s_wait_alu 0xfffd
	v_add_co_ci_u32_e64 v20, null, 0, v20, vcc_lo
	v_cmp_le_i32_e32 vcc_lo, s14, v19
	s_or_b32 s29, vcc_lo, s29
	s_wait_loadcnt 0x0
	v_fma_f64 v[11:12], v[30:31], v[34:35], v[11:12]
	v_fma_f64 v[9:10], v[32:33], v[34:35], v[9:10]
	s_delay_alu instid0(VALU_DEP_2) | instskip(NEXT) | instid1(VALU_DEP_2)
	v_fma_f64 v[11:12], -v[32:33], v[36:37], v[11:12]
	v_fma_f64 v[9:10], v[30:31], v[36:37], v[9:10]
	s_and_not1_b32 exec_lo, exec_lo, s29
	s_cbranch_execz .LBB21_11
.LBB21_16:                              ;   Parent Loop BB21_9 Depth=1
                                        ;     Parent Loop BB21_13 Depth=2
                                        ; =>    This Inner Loop Header: Depth=3
	s_and_b32 vcc_lo, exec_lo, s15
	s_wait_alu 0xfffe
	s_cbranch_vccz .LBB21_18
; %bb.17:                               ;   in Loop: Header=BB21_16 Depth=3
	v_ashrrev_i32_e32 v22, 31, v29
	v_add_co_u32 v21, vcc_lo, v17, v29
	s_wait_alu 0xfffd
	s_delay_alu instid0(VALU_DEP_2)
	v_add_co_ci_u32_e64 v22, null, v18, v22, vcc_lo
	s_cbranch_execnz .LBB21_15
	s_branch .LBB21_19
.LBB21_18:                              ;   in Loop: Header=BB21_16 Depth=3
                                        ; implicit-def: $vgpr21_vgpr22
.LBB21_19:                              ;   in Loop: Header=BB21_16 Depth=3
	v_add_co_u32 v21, vcc_lo, v27, v19
	s_wait_alu 0xfffd
	v_add_co_ci_u32_e64 v22, null, v28, v20, vcc_lo
	s_branch .LBB21_15
.LBB21_20:                              ;   in Loop: Header=BB21_9 Depth=1
	s_wait_dscnt 0x3
	ds_bpermute_b32 v17, v24, v11
	s_wait_dscnt 0x3
	ds_bpermute_b32 v18, v24, v12
	;; [unrolled: 2-line block ×4, first 2 shown]
	s_wait_dscnt 0x2
	v_add_f64_e32 v[11:12], v[11:12], v[17:18]
	s_wait_dscnt 0x0
	v_add_f64_e32 v[17:18], v[9:10], v[19:20]
	ds_bpermute_b32 v9, v25, v11
	ds_bpermute_b32 v10, v25, v12
	;; [unrolled: 1-line block ×4, first 2 shown]
	s_wait_dscnt 0x2
	v_add_f64_e32 v[9:10], v[11:12], v[9:10]
	s_wait_dscnt 0x0
	v_add_f64_e32 v[11:12], v[17:18], v[19:20]
	ds_bpermute_b32 v17, v26, v9
	ds_bpermute_b32 v18, v26, v10
	;; [unrolled: 1-line block ×4, first 2 shown]
	s_and_saveexec_b32 s22, s1
	s_cbranch_execz .LBB21_8
; %bb.21:                               ;   in Loop: Header=BB21_9 Depth=1
	s_wait_dscnt 0x0
	v_add_f64_e32 v[11:12], v[11:12], v[19:20]
	v_add_f64_e32 v[17:18], v[9:10], v[17:18]
	s_delay_alu instid0(VALU_DEP_2) | instskip(SKIP_1) | instid1(VALU_DEP_2)
	v_mul_f64_e64 v[9:10], v[11:12], -v[3:4]
	v_mul_f64_e32 v[11:12], v[1:2], v[11:12]
	v_fma_f64 v[9:10], v[1:2], v[17:18], v[9:10]
	s_delay_alu instid0(VALU_DEP_2) | instskip(SKIP_1) | instid1(VALU_DEP_1)
	v_fma_f64 v[11:12], v[3:4], v[17:18], v[11:12]
	v_add_nc_u32_e32 v17, s26, v13
	v_ashrrev_i32_e32 v18, 31, v17
	s_and_saveexec_b32 s23, s24
	s_wait_alu 0xfffe
	s_xor_b32 s23, exec_lo, s23
	s_cbranch_execz .LBB21_23
; %bb.22:                               ;   in Loop: Header=BB21_9 Depth=1
	v_lshlrev_b64_e32 v[17:18], 4, v[17:18]
	s_delay_alu instid0(VALU_DEP_1) | instskip(SKIP_1) | instid1(VALU_DEP_2)
	v_add_co_u32 v17, vcc_lo, s16, v17
	s_wait_alu 0xfffd
	v_add_co_ci_u32_e64 v18, null, s17, v18, vcc_lo
	global_store_b128 v[17:18], v[9:12], off
                                        ; implicit-def: $vgpr17
                                        ; implicit-def: $vgpr9_vgpr10
.LBB21_23:                              ;   in Loop: Header=BB21_9 Depth=1
	s_wait_alu 0xfffe
	s_and_not1_saveexec_b32 s23, s23
	s_cbranch_execz .LBB21_8
; %bb.24:                               ;   in Loop: Header=BB21_9 Depth=1
	v_lshlrev_b64_e32 v[17:18], 4, v[17:18]
	s_delay_alu instid0(VALU_DEP_1) | instskip(SKIP_1) | instid1(VALU_DEP_2)
	v_add_co_u32 v21, vcc_lo, s16, v17
	s_wait_alu 0xfffd
	v_add_co_ci_u32_e64 v22, null, s17, v18, vcc_lo
	global_load_b128 v[17:20], v[21:22], off
	s_wait_loadcnt 0x0
	v_fma_f64 v[9:10], v[5:6], v[17:18], v[9:10]
	v_fma_f64 v[11:12], v[7:8], v[17:18], v[11:12]
	s_delay_alu instid0(VALU_DEP_2) | instskip(NEXT) | instid1(VALU_DEP_2)
	v_fma_f64 v[9:10], -v[7:8], v[19:20], v[9:10]
	v_fma_f64 v[11:12], v[5:6], v[19:20], v[11:12]
	global_store_b128 v[21:22], v[9:12], off
	s_branch .LBB21_8
.LBB21_25:
	s_endpgm
	.section	.rodata,"a",@progbits
	.p2align	6, 0x0
	.amdhsa_kernel _ZN9rocsparseL22bsrxmvn_general_kernelILj64ELj8E21rocsparse_complex_numIdEliS2_S2_S2_EEv20rocsparse_direction_NS_24const_host_device_scalarIT1_EET3_PKS7_PKT2_SC_S9_PKT4_S7_PKT5_S6_PT6_21rocsparse_index_base_b
		.amdhsa_group_segment_fixed_size 0
		.amdhsa_private_segment_fixed_size 0
		.amdhsa_kernarg_size 120
		.amdhsa_user_sgpr_count 2
		.amdhsa_user_sgpr_dispatch_ptr 0
		.amdhsa_user_sgpr_queue_ptr 0
		.amdhsa_user_sgpr_kernarg_segment_ptr 1
		.amdhsa_user_sgpr_dispatch_id 0
		.amdhsa_user_sgpr_private_segment_size 0
		.amdhsa_wavefront_size32 1
		.amdhsa_uses_dynamic_stack 0
		.amdhsa_enable_private_segment 0
		.amdhsa_system_sgpr_workgroup_id_x 1
		.amdhsa_system_sgpr_workgroup_id_y 0
		.amdhsa_system_sgpr_workgroup_id_z 0
		.amdhsa_system_sgpr_workgroup_info 0
		.amdhsa_system_vgpr_workitem_id 0
		.amdhsa_next_free_vgpr 38
		.amdhsa_next_free_sgpr 32
		.amdhsa_reserve_vcc 1
		.amdhsa_float_round_mode_32 0
		.amdhsa_float_round_mode_16_64 0
		.amdhsa_float_denorm_mode_32 3
		.amdhsa_float_denorm_mode_16_64 3
		.amdhsa_fp16_overflow 0
		.amdhsa_workgroup_processor_mode 1
		.amdhsa_memory_ordered 1
		.amdhsa_forward_progress 1
		.amdhsa_inst_pref_size 12
		.amdhsa_round_robin_scheduling 0
		.amdhsa_exception_fp_ieee_invalid_op 0
		.amdhsa_exception_fp_denorm_src 0
		.amdhsa_exception_fp_ieee_div_zero 0
		.amdhsa_exception_fp_ieee_overflow 0
		.amdhsa_exception_fp_ieee_underflow 0
		.amdhsa_exception_fp_ieee_inexact 0
		.amdhsa_exception_int_div_zero 0
	.end_amdhsa_kernel
	.section	.text._ZN9rocsparseL22bsrxmvn_general_kernelILj64ELj8E21rocsparse_complex_numIdEliS2_S2_S2_EEv20rocsparse_direction_NS_24const_host_device_scalarIT1_EET3_PKS7_PKT2_SC_S9_PKT4_S7_PKT5_S6_PT6_21rocsparse_index_base_b,"axG",@progbits,_ZN9rocsparseL22bsrxmvn_general_kernelILj64ELj8E21rocsparse_complex_numIdEliS2_S2_S2_EEv20rocsparse_direction_NS_24const_host_device_scalarIT1_EET3_PKS7_PKT2_SC_S9_PKT4_S7_PKT5_S6_PT6_21rocsparse_index_base_b,comdat
.Lfunc_end21:
	.size	_ZN9rocsparseL22bsrxmvn_general_kernelILj64ELj8E21rocsparse_complex_numIdEliS2_S2_S2_EEv20rocsparse_direction_NS_24const_host_device_scalarIT1_EET3_PKS7_PKT2_SC_S9_PKT4_S7_PKT5_S6_PT6_21rocsparse_index_base_b, .Lfunc_end21-_ZN9rocsparseL22bsrxmvn_general_kernelILj64ELj8E21rocsparse_complex_numIdEliS2_S2_S2_EEv20rocsparse_direction_NS_24const_host_device_scalarIT1_EET3_PKS7_PKT2_SC_S9_PKT4_S7_PKT5_S6_PT6_21rocsparse_index_base_b
                                        ; -- End function
	.set _ZN9rocsparseL22bsrxmvn_general_kernelILj64ELj8E21rocsparse_complex_numIdEliS2_S2_S2_EEv20rocsparse_direction_NS_24const_host_device_scalarIT1_EET3_PKS7_PKT2_SC_S9_PKT4_S7_PKT5_S6_PT6_21rocsparse_index_base_b.num_vgpr, 38
	.set _ZN9rocsparseL22bsrxmvn_general_kernelILj64ELj8E21rocsparse_complex_numIdEliS2_S2_S2_EEv20rocsparse_direction_NS_24const_host_device_scalarIT1_EET3_PKS7_PKT2_SC_S9_PKT4_S7_PKT5_S6_PT6_21rocsparse_index_base_b.num_agpr, 0
	.set _ZN9rocsparseL22bsrxmvn_general_kernelILj64ELj8E21rocsparse_complex_numIdEliS2_S2_S2_EEv20rocsparse_direction_NS_24const_host_device_scalarIT1_EET3_PKS7_PKT2_SC_S9_PKT4_S7_PKT5_S6_PT6_21rocsparse_index_base_b.numbered_sgpr, 32
	.set _ZN9rocsparseL22bsrxmvn_general_kernelILj64ELj8E21rocsparse_complex_numIdEliS2_S2_S2_EEv20rocsparse_direction_NS_24const_host_device_scalarIT1_EET3_PKS7_PKT2_SC_S9_PKT4_S7_PKT5_S6_PT6_21rocsparse_index_base_b.num_named_barrier, 0
	.set _ZN9rocsparseL22bsrxmvn_general_kernelILj64ELj8E21rocsparse_complex_numIdEliS2_S2_S2_EEv20rocsparse_direction_NS_24const_host_device_scalarIT1_EET3_PKS7_PKT2_SC_S9_PKT4_S7_PKT5_S6_PT6_21rocsparse_index_base_b.private_seg_size, 0
	.set _ZN9rocsparseL22bsrxmvn_general_kernelILj64ELj8E21rocsparse_complex_numIdEliS2_S2_S2_EEv20rocsparse_direction_NS_24const_host_device_scalarIT1_EET3_PKS7_PKT2_SC_S9_PKT4_S7_PKT5_S6_PT6_21rocsparse_index_base_b.uses_vcc, 1
	.set _ZN9rocsparseL22bsrxmvn_general_kernelILj64ELj8E21rocsparse_complex_numIdEliS2_S2_S2_EEv20rocsparse_direction_NS_24const_host_device_scalarIT1_EET3_PKS7_PKT2_SC_S9_PKT4_S7_PKT5_S6_PT6_21rocsparse_index_base_b.uses_flat_scratch, 0
	.set _ZN9rocsparseL22bsrxmvn_general_kernelILj64ELj8E21rocsparse_complex_numIdEliS2_S2_S2_EEv20rocsparse_direction_NS_24const_host_device_scalarIT1_EET3_PKS7_PKT2_SC_S9_PKT4_S7_PKT5_S6_PT6_21rocsparse_index_base_b.has_dyn_sized_stack, 0
	.set _ZN9rocsparseL22bsrxmvn_general_kernelILj64ELj8E21rocsparse_complex_numIdEliS2_S2_S2_EEv20rocsparse_direction_NS_24const_host_device_scalarIT1_EET3_PKS7_PKT2_SC_S9_PKT4_S7_PKT5_S6_PT6_21rocsparse_index_base_b.has_recursion, 0
	.set _ZN9rocsparseL22bsrxmvn_general_kernelILj64ELj8E21rocsparse_complex_numIdEliS2_S2_S2_EEv20rocsparse_direction_NS_24const_host_device_scalarIT1_EET3_PKS7_PKT2_SC_S9_PKT4_S7_PKT5_S6_PT6_21rocsparse_index_base_b.has_indirect_call, 0
	.section	.AMDGPU.csdata,"",@progbits
; Kernel info:
; codeLenInByte = 1500
; TotalNumSgprs: 34
; NumVgprs: 38
; ScratchSize: 0
; MemoryBound: 0
; FloatMode: 240
; IeeeMode: 1
; LDSByteSize: 0 bytes/workgroup (compile time only)
; SGPRBlocks: 0
; VGPRBlocks: 4
; NumSGPRsForWavesPerEU: 34
; NumVGPRsForWavesPerEU: 38
; Occupancy: 16
; WaveLimiterHint : 1
; COMPUTE_PGM_RSRC2:SCRATCH_EN: 0
; COMPUTE_PGM_RSRC2:USER_SGPR: 2
; COMPUTE_PGM_RSRC2:TRAP_HANDLER: 0
; COMPUTE_PGM_RSRC2:TGID_X_EN: 1
; COMPUTE_PGM_RSRC2:TGID_Y_EN: 0
; COMPUTE_PGM_RSRC2:TGID_Z_EN: 0
; COMPUTE_PGM_RSRC2:TIDIG_COMP_CNT: 0
	.section	.text._ZN9rocsparseL22bsrxmvn_general_kernelILj256ELj16E21rocsparse_complex_numIdEliS2_S2_S2_EEv20rocsparse_direction_NS_24const_host_device_scalarIT1_EET3_PKS7_PKT2_SC_S9_PKT4_S7_PKT5_S6_PT6_21rocsparse_index_base_b,"axG",@progbits,_ZN9rocsparseL22bsrxmvn_general_kernelILj256ELj16E21rocsparse_complex_numIdEliS2_S2_S2_EEv20rocsparse_direction_NS_24const_host_device_scalarIT1_EET3_PKS7_PKT2_SC_S9_PKT4_S7_PKT5_S6_PT6_21rocsparse_index_base_b,comdat
	.globl	_ZN9rocsparseL22bsrxmvn_general_kernelILj256ELj16E21rocsparse_complex_numIdEliS2_S2_S2_EEv20rocsparse_direction_NS_24const_host_device_scalarIT1_EET3_PKS7_PKT2_SC_S9_PKT4_S7_PKT5_S6_PT6_21rocsparse_index_base_b ; -- Begin function _ZN9rocsparseL22bsrxmvn_general_kernelILj256ELj16E21rocsparse_complex_numIdEliS2_S2_S2_EEv20rocsparse_direction_NS_24const_host_device_scalarIT1_EET3_PKS7_PKT2_SC_S9_PKT4_S7_PKT5_S6_PT6_21rocsparse_index_base_b
	.p2align	8
	.type	_ZN9rocsparseL22bsrxmvn_general_kernelILj256ELj16E21rocsparse_complex_numIdEliS2_S2_S2_EEv20rocsparse_direction_NS_24const_host_device_scalarIT1_EET3_PKS7_PKT2_SC_S9_PKT4_S7_PKT5_S6_PT6_21rocsparse_index_base_b,@function
_ZN9rocsparseL22bsrxmvn_general_kernelILj256ELj16E21rocsparse_complex_numIdEliS2_S2_S2_EEv20rocsparse_direction_NS_24const_host_device_scalarIT1_EET3_PKS7_PKT2_SC_S9_PKT4_S7_PKT5_S6_PT6_21rocsparse_index_base_b: ; @_ZN9rocsparseL22bsrxmvn_general_kernelILj256ELj16E21rocsparse_complex_numIdEliS2_S2_S2_EEv20rocsparse_direction_NS_24const_host_device_scalarIT1_EET3_PKS7_PKT2_SC_S9_PKT4_S7_PKT5_S6_PT6_21rocsparse_index_base_b
; %bb.0:
	s_clause 0x1
	s_load_b64 s[12:13], s[0:1], 0x70
	s_load_b64 s[2:3], s[0:1], 0x8
	s_add_nc_u64 s[4:5], s[0:1], 8
	s_load_b64 s[6:7], s[0:1], 0x58
	s_wait_kmcnt 0x0
	s_bitcmp1_b32 s13, 0
	s_cselect_b32 s2, s4, s2
	s_cselect_b32 s3, s5, s3
	s_delay_alu instid0(SALU_CYCLE_1)
	v_dual_mov_b32 v1, s2 :: v_dual_mov_b32 v2, s3
	s_add_nc_u64 s[2:3], s[0:1], 0x58
	s_wait_alu 0xfffe
	s_cselect_b32 s2, s2, s6
	s_cselect_b32 s3, s3, s7
	flat_load_b128 v[1:4], v[1:2]
	s_wait_alu 0xfffe
	v_dual_mov_b32 v5, s2 :: v_dual_mov_b32 v6, s3
	flat_load_b128 v[5:8], v[5:6]
	s_wait_loadcnt_dscnt 0x101
	v_cmp_eq_f64_e32 vcc_lo, 0, v[1:2]
	v_cmp_eq_f64_e64 s2, 0, v[3:4]
	s_and_b32 s4, vcc_lo, s2
	s_mov_b32 s2, -1
	s_and_saveexec_b32 s3, s4
	s_cbranch_execz .LBB22_2
; %bb.1:
	s_wait_loadcnt_dscnt 0x0
	v_cmp_neq_f64_e32 vcc_lo, 1.0, v[5:6]
	v_cmp_neq_f64_e64 s2, 0, v[7:8]
	s_wait_alu 0xfffe
	s_or_b32 s2, vcc_lo, s2
	s_wait_alu 0xfffe
	s_or_not1_b32 s2, s2, exec_lo
.LBB22_2:
	s_wait_alu 0xfffe
	s_or_b32 exec_lo, exec_lo, s3
	s_and_saveexec_b32 s3, s2
	s_cbranch_execz .LBB22_25
; %bb.3:
	s_load_b64 s[2:3], s[0:1], 0x20
	s_wait_kmcnt 0x0
	s_cmp_eq_u64 s[2:3], 0
	s_cbranch_scc1 .LBB22_5
; %bb.4:
	s_mov_b32 s4, ttmp9
	s_ashr_i32 s5, ttmp9, 31
	s_delay_alu instid0(SALU_CYCLE_1) | instskip(NEXT) | instid1(SALU_CYCLE_1)
	s_lshl_b64 s[4:5], s[4:5], 2
	s_add_nc_u64 s[2:3], s[2:3], s[4:5]
	s_load_b32 s2, s[2:3], 0x0
	s_wait_kmcnt 0x0
	s_sub_co_i32 s22, s2, s12
	s_branch .LBB22_6
.LBB22_5:
	s_mov_b32 s22, ttmp9
.LBB22_6:
	s_load_b32 s14, s[0:1], 0x48
	v_lshrrev_b32_e32 v13, 4, v0
	s_wait_kmcnt 0x0
	s_delay_alu instid0(VALU_DEP_1)
	v_cmp_gt_i32_e32 vcc_lo, s14, v13
	s_and_b32 exec_lo, exec_lo, vcc_lo
	s_cbranch_execz .LBB22_25
; %bb.7:
	s_clause 0x2
	s_load_b256 s[4:11], s[0:1], 0x28
	s_load_b64 s[16:17], s[0:1], 0x68
	s_load_b64 s[18:19], s[0:1], 0x50
	s_wait_loadcnt_dscnt 0x0
	v_cmp_eq_f64_e32 vcc_lo, 0, v[5:6]
	v_cmp_eq_f64_e64 s2, 0, v[7:8]
	v_mbcnt_lo_u32_b32 v9, -1, 0
	s_ashr_i32 s23, s22, 31
	s_load_b32 s28, s[0:1], 0x0
	s_lshl_b64 s[24:25], s[22:23], 3
	v_dual_mov_b32 v16, 0 :: v_dual_and_b32 v15, 15, v0
	v_xor_b32_e32 v10, 8, v9
	v_xor_b32_e32 v11, 4, v9
	;; [unrolled: 1-line block ×4, first 2 shown]
	s_mov_b32 s13, 0
	v_cmp_gt_i32_e64 s3, 32, v10
	v_mul_lo_u32 v0, s14, v13
	v_mul_lo_u32 v23, s14, v15
	s_mov_b32 s15, s13
	s_wait_kmcnt 0x0
	s_add_nc_u64 s[4:5], s[4:5], s[24:25]
	s_add_nc_u64 s[24:25], s[6:7], s[24:25]
	s_cmp_eq_u64 s[6:7], 0
	s_add_nc_u64 s[6:7], s[4:5], 8
	s_wait_alu 0xf1ff
	v_cndmask_b32_e64 v10, v9, v10, s3
	s_cselect_b32 s7, s7, s25
	s_cselect_b32 s6, s6, s24
	s_load_b64 s[26:27], s[4:5], 0x0
	s_load_b64 s[6:7], s[6:7], 0x0
	v_cmp_gt_i32_e64 s3, 32, v11
	s_cmp_lg_u32 s28, 0
	v_cmp_gt_u32_e64 s0, s14, v15
	v_cmp_eq_u32_e64 s1, 15, v15
	v_lshlrev_b32_e32 v24, 2, v10
	s_wait_alu 0xf1ff
	v_cndmask_b32_e64 v11, v9, v11, s3
	v_cmp_gt_i32_e64 s3, 32, v12
	s_mul_u64 s[20:21], s[14:15], s[14:15]
	s_cselect_b32 s15, -1, 0
	v_lshlrev_b32_e32 v25, 2, v11
	v_cndmask_b32_e64 v12, v9, v12, s3
	v_cmp_gt_i32_e64 s3, 32, v14
	s_and_b32 s24, vcc_lo, s2
	v_lshlrev_b32_e32 v26, 2, v12
	v_cndmask_b32_e64 v9, v9, v14, s3
	s_wait_kmcnt 0x0
	s_sub_nc_u64 s[2:3], s[26:27], s[12:13]
	v_cmp_lt_i64_e64 s25, s[26:27], s[6:7]
	s_sub_nc_u64 s[4:5], s[6:7], s[12:13]
	s_mul_i32 s26, s22, s14
	v_lshlrev_b32_e32 v27, 2, v9
	s_wait_alu 0xfffe
	s_mul_u64 s[6:7], s[2:3], s[20:21]
	s_lshl_b32 s27, s14, 4
	s_branch .LBB22_9
.LBB22_8:                               ;   in Loop: Header=BB22_9 Depth=1
	s_wait_alu 0xfffe
	s_or_b32 exec_lo, exec_lo, s22
	v_add_nc_u32_e32 v13, 16, v13
	v_add_nc_u32_e32 v0, s27, v0
	s_delay_alu instid0(VALU_DEP_2) | instskip(SKIP_1) | instid1(SALU_CYCLE_1)
	v_cmp_le_i32_e32 vcc_lo, s14, v13
	s_or_b32 s13, vcc_lo, s13
	s_and_not1_b32 exec_lo, exec_lo, s13
	s_cbranch_execz .LBB22_25
.LBB22_9:                               ; =>This Loop Header: Depth=1
                                        ;     Child Loop BB22_13 Depth 2
                                        ;       Child Loop BB22_16 Depth 3
	v_mov_b32_e32 v9, 0
	v_dual_mov_b32 v10, 0 :: v_dual_mov_b32 v11, 0
	v_mov_b32_e32 v12, 0
	s_and_not1_b32 vcc_lo, exec_lo, s25
	s_wait_alu 0xfffe
	s_cbranch_vccnz .LBB22_20
; %bb.10:                               ;   in Loop: Header=BB22_9 Depth=1
	v_ashrrev_i32_e32 v11, 31, v0
	v_add_co_u32 v28, vcc_lo, s6, v0
	v_mov_b32_e32 v9, 0
	v_mov_b32_e32 v10, 0
	s_wait_alu 0xfffd
	v_add_co_ci_u32_e64 v29, null, s7, v11, vcc_lo
	v_mov_b32_e32 v11, 0
	v_mov_b32_e32 v12, 0
	v_ashrrev_i32_e32 v14, 31, v13
	s_mov_b64 s[22:23], s[2:3]
	s_branch .LBB22_13
.LBB22_11:                              ;   in Loop: Header=BB22_13 Depth=2
	s_or_b32 exec_lo, exec_lo, s29
.LBB22_12:                              ;   in Loop: Header=BB22_13 Depth=2
	s_delay_alu instid0(SALU_CYCLE_1)
	s_or_b32 exec_lo, exec_lo, s28
	s_wait_alu 0xfffe
	s_add_nc_u64 s[22:23], s[22:23], 1
	v_add_co_u32 v28, vcc_lo, v28, s20
	s_wait_alu 0xfffe
	v_cmp_ge_i64_e64 s28, s[22:23], s[4:5]
	s_wait_alu 0xfffd
	v_add_co_ci_u32_e64 v29, null, s21, v29, vcc_lo
	s_and_b32 vcc_lo, exec_lo, s28
	s_wait_alu 0xfffe
	s_cbranch_vccnz .LBB22_20
.LBB22_13:                              ;   Parent Loop BB22_9 Depth=1
                                        ; =>  This Loop Header: Depth=2
                                        ;       Child Loop BB22_16 Depth 3
	s_and_saveexec_b32 s28, s0
	s_cbranch_execz .LBB22_12
; %bb.14:                               ;   in Loop: Header=BB22_13 Depth=2
	s_wait_alu 0xfffe
	s_lshl_b64 s[30:31], s[22:23], 2
	s_wait_dscnt 0x2
	v_mad_co_u64_u32 v[17:18], null, s20, s22, v[13:14]
	s_wait_alu 0xfffe
	s_add_nc_u64 s[30:31], s[8:9], s[30:31]
	s_wait_dscnt 0x0
	v_mov_b32_e32 v20, v16
	s_load_b32 s29, s[30:31], 0x0
	s_mul_i32 s30, s21, s22
	s_mul_i32 s31, s20, s23
	v_dual_mov_b32 v30, v23 :: v_dual_mov_b32 v19, v15
	s_wait_alu 0xfffe
	v_add3_u32 v18, s31, s30, v18
	s_wait_kmcnt 0x0
	s_sub_co_i32 s29, s29, s12
	s_delay_alu instid0(SALU_CYCLE_1)
	s_mul_i32 s30, s29, s14
	s_mov_b32 s29, 0
	s_branch .LBB22_16
.LBB22_15:                              ;   in Loop: Header=BB22_16 Depth=3
	v_add_nc_u32_e32 v31, s30, v19
	s_delay_alu instid0(VALU_DEP_2) | instskip(SKIP_1) | instid1(VALU_DEP_3)
	v_lshlrev_b64_e32 v[21:22], 4, v[21:22]
	v_add_nc_u32_e32 v30, s27, v30
	v_ashrrev_i32_e32 v32, 31, v31
	s_delay_alu instid0(VALU_DEP_3) | instskip(SKIP_1) | instid1(VALU_DEP_4)
	v_add_co_u32 v21, vcc_lo, s10, v21
	s_wait_alu 0xfffd
	v_add_co_ci_u32_e64 v22, null, s11, v22, vcc_lo
	s_delay_alu instid0(VALU_DEP_3) | instskip(NEXT) | instid1(VALU_DEP_1)
	v_lshlrev_b64_e32 v[31:32], 4, v[31:32]
	v_add_co_u32 v35, vcc_lo, s18, v31
	s_wait_alu 0xfffd
	s_delay_alu instid0(VALU_DEP_2)
	v_add_co_ci_u32_e64 v36, null, s19, v32, vcc_lo
	v_add_co_u32 v19, vcc_lo, v19, 16
	global_load_b128 v[31:34], v[21:22], off
	global_load_b128 v[35:38], v[35:36], off
	s_wait_alu 0xfffd
	v_add_co_ci_u32_e64 v20, null, 0, v20, vcc_lo
	v_cmp_le_i32_e32 vcc_lo, s14, v19
	s_or_b32 s29, vcc_lo, s29
	s_wait_loadcnt 0x0
	v_fma_f64 v[11:12], v[31:32], v[35:36], v[11:12]
	v_fma_f64 v[9:10], v[33:34], v[35:36], v[9:10]
	s_delay_alu instid0(VALU_DEP_2) | instskip(NEXT) | instid1(VALU_DEP_2)
	v_fma_f64 v[11:12], -v[33:34], v[37:38], v[11:12]
	v_fma_f64 v[9:10], v[31:32], v[37:38], v[9:10]
	s_and_not1_b32 exec_lo, exec_lo, s29
	s_cbranch_execz .LBB22_11
.LBB22_16:                              ;   Parent Loop BB22_9 Depth=1
                                        ;     Parent Loop BB22_13 Depth=2
                                        ; =>    This Inner Loop Header: Depth=3
	s_and_b32 vcc_lo, exec_lo, s15
	s_wait_alu 0xfffe
	s_cbranch_vccz .LBB22_18
; %bb.17:                               ;   in Loop: Header=BB22_16 Depth=3
	v_ashrrev_i32_e32 v22, 31, v30
	v_add_co_u32 v21, vcc_lo, v17, v30
	s_wait_alu 0xfffd
	s_delay_alu instid0(VALU_DEP_2)
	v_add_co_ci_u32_e64 v22, null, v18, v22, vcc_lo
	s_cbranch_execnz .LBB22_15
	s_branch .LBB22_19
.LBB22_18:                              ;   in Loop: Header=BB22_16 Depth=3
                                        ; implicit-def: $vgpr21_vgpr22
.LBB22_19:                              ;   in Loop: Header=BB22_16 Depth=3
	v_add_co_u32 v21, vcc_lo, v28, v19
	s_wait_alu 0xfffd
	v_add_co_ci_u32_e64 v22, null, v29, v20, vcc_lo
	s_branch .LBB22_15
.LBB22_20:                              ;   in Loop: Header=BB22_9 Depth=1
	s_wait_dscnt 0x3
	ds_bpermute_b32 v17, v24, v11
	s_wait_dscnt 0x3
	ds_bpermute_b32 v18, v24, v12
	s_wait_dscnt 0x3
	ds_bpermute_b32 v19, v24, v9
	s_wait_dscnt 0x3
	ds_bpermute_b32 v20, v24, v10
	s_wait_dscnt 0x2
	v_add_f64_e32 v[11:12], v[11:12], v[17:18]
	s_wait_dscnt 0x0
	v_add_f64_e32 v[9:10], v[9:10], v[19:20]
	ds_bpermute_b32 v17, v25, v11
	ds_bpermute_b32 v18, v25, v12
	ds_bpermute_b32 v19, v25, v9
	ds_bpermute_b32 v20, v25, v10
	s_wait_dscnt 0x2
	v_add_f64_e32 v[11:12], v[11:12], v[17:18]
	s_wait_dscnt 0x0
	v_add_f64_e32 v[17:18], v[9:10], v[19:20]
	ds_bpermute_b32 v9, v26, v11
	ds_bpermute_b32 v10, v26, v12
	ds_bpermute_b32 v19, v26, v17
	ds_bpermute_b32 v20, v26, v18
	;; [unrolled: 8-line block ×3, first 2 shown]
	s_and_saveexec_b32 s22, s1
	s_cbranch_execz .LBB22_8
; %bb.21:                               ;   in Loop: Header=BB22_9 Depth=1
	s_wait_dscnt 0x0
	v_add_f64_e32 v[11:12], v[11:12], v[19:20]
	v_add_f64_e32 v[17:18], v[9:10], v[17:18]
	s_delay_alu instid0(VALU_DEP_2) | instskip(SKIP_1) | instid1(VALU_DEP_2)
	v_mul_f64_e64 v[9:10], v[11:12], -v[3:4]
	v_mul_f64_e32 v[11:12], v[1:2], v[11:12]
	v_fma_f64 v[9:10], v[1:2], v[17:18], v[9:10]
	s_delay_alu instid0(VALU_DEP_2) | instskip(SKIP_1) | instid1(VALU_DEP_1)
	v_fma_f64 v[11:12], v[3:4], v[17:18], v[11:12]
	v_add_nc_u32_e32 v17, s26, v13
	v_ashrrev_i32_e32 v18, 31, v17
	s_and_saveexec_b32 s23, s24
	s_wait_alu 0xfffe
	s_xor_b32 s23, exec_lo, s23
	s_cbranch_execz .LBB22_23
; %bb.22:                               ;   in Loop: Header=BB22_9 Depth=1
	v_lshlrev_b64_e32 v[17:18], 4, v[17:18]
	s_delay_alu instid0(VALU_DEP_1) | instskip(SKIP_1) | instid1(VALU_DEP_2)
	v_add_co_u32 v17, vcc_lo, s16, v17
	s_wait_alu 0xfffd
	v_add_co_ci_u32_e64 v18, null, s17, v18, vcc_lo
	global_store_b128 v[17:18], v[9:12], off
                                        ; implicit-def: $vgpr17
                                        ; implicit-def: $vgpr9_vgpr10
.LBB22_23:                              ;   in Loop: Header=BB22_9 Depth=1
	s_wait_alu 0xfffe
	s_and_not1_saveexec_b32 s23, s23
	s_cbranch_execz .LBB22_8
; %bb.24:                               ;   in Loop: Header=BB22_9 Depth=1
	v_lshlrev_b64_e32 v[17:18], 4, v[17:18]
	s_delay_alu instid0(VALU_DEP_1) | instskip(SKIP_1) | instid1(VALU_DEP_2)
	v_add_co_u32 v21, vcc_lo, s16, v17
	s_wait_alu 0xfffd
	v_add_co_ci_u32_e64 v22, null, s17, v18, vcc_lo
	global_load_b128 v[17:20], v[21:22], off
	s_wait_loadcnt 0x0
	v_fma_f64 v[9:10], v[5:6], v[17:18], v[9:10]
	v_fma_f64 v[11:12], v[7:8], v[17:18], v[11:12]
	s_delay_alu instid0(VALU_DEP_2) | instskip(NEXT) | instid1(VALU_DEP_2)
	v_fma_f64 v[9:10], -v[7:8], v[19:20], v[9:10]
	v_fma_f64 v[11:12], v[5:6], v[19:20], v[11:12]
	global_store_b128 v[21:22], v[9:12], off
	s_branch .LBB22_8
.LBB22_25:
	s_endpgm
	.section	.rodata,"a",@progbits
	.p2align	6, 0x0
	.amdhsa_kernel _ZN9rocsparseL22bsrxmvn_general_kernelILj256ELj16E21rocsparse_complex_numIdEliS2_S2_S2_EEv20rocsparse_direction_NS_24const_host_device_scalarIT1_EET3_PKS7_PKT2_SC_S9_PKT4_S7_PKT5_S6_PT6_21rocsparse_index_base_b
		.amdhsa_group_segment_fixed_size 0
		.amdhsa_private_segment_fixed_size 0
		.amdhsa_kernarg_size 120
		.amdhsa_user_sgpr_count 2
		.amdhsa_user_sgpr_dispatch_ptr 0
		.amdhsa_user_sgpr_queue_ptr 0
		.amdhsa_user_sgpr_kernarg_segment_ptr 1
		.amdhsa_user_sgpr_dispatch_id 0
		.amdhsa_user_sgpr_private_segment_size 0
		.amdhsa_wavefront_size32 1
		.amdhsa_uses_dynamic_stack 0
		.amdhsa_enable_private_segment 0
		.amdhsa_system_sgpr_workgroup_id_x 1
		.amdhsa_system_sgpr_workgroup_id_y 0
		.amdhsa_system_sgpr_workgroup_id_z 0
		.amdhsa_system_sgpr_workgroup_info 0
		.amdhsa_system_vgpr_workitem_id 0
		.amdhsa_next_free_vgpr 39
		.amdhsa_next_free_sgpr 32
		.amdhsa_reserve_vcc 1
		.amdhsa_float_round_mode_32 0
		.amdhsa_float_round_mode_16_64 0
		.amdhsa_float_denorm_mode_32 3
		.amdhsa_float_denorm_mode_16_64 3
		.amdhsa_fp16_overflow 0
		.amdhsa_workgroup_processor_mode 1
		.amdhsa_memory_ordered 1
		.amdhsa_forward_progress 1
		.amdhsa_inst_pref_size 13
		.amdhsa_round_robin_scheduling 0
		.amdhsa_exception_fp_ieee_invalid_op 0
		.amdhsa_exception_fp_denorm_src 0
		.amdhsa_exception_fp_ieee_div_zero 0
		.amdhsa_exception_fp_ieee_overflow 0
		.amdhsa_exception_fp_ieee_underflow 0
		.amdhsa_exception_fp_ieee_inexact 0
		.amdhsa_exception_int_div_zero 0
	.end_amdhsa_kernel
	.section	.text._ZN9rocsparseL22bsrxmvn_general_kernelILj256ELj16E21rocsparse_complex_numIdEliS2_S2_S2_EEv20rocsparse_direction_NS_24const_host_device_scalarIT1_EET3_PKS7_PKT2_SC_S9_PKT4_S7_PKT5_S6_PT6_21rocsparse_index_base_b,"axG",@progbits,_ZN9rocsparseL22bsrxmvn_general_kernelILj256ELj16E21rocsparse_complex_numIdEliS2_S2_S2_EEv20rocsparse_direction_NS_24const_host_device_scalarIT1_EET3_PKS7_PKT2_SC_S9_PKT4_S7_PKT5_S6_PT6_21rocsparse_index_base_b,comdat
.Lfunc_end22:
	.size	_ZN9rocsparseL22bsrxmvn_general_kernelILj256ELj16E21rocsparse_complex_numIdEliS2_S2_S2_EEv20rocsparse_direction_NS_24const_host_device_scalarIT1_EET3_PKS7_PKT2_SC_S9_PKT4_S7_PKT5_S6_PT6_21rocsparse_index_base_b, .Lfunc_end22-_ZN9rocsparseL22bsrxmvn_general_kernelILj256ELj16E21rocsparse_complex_numIdEliS2_S2_S2_EEv20rocsparse_direction_NS_24const_host_device_scalarIT1_EET3_PKS7_PKT2_SC_S9_PKT4_S7_PKT5_S6_PT6_21rocsparse_index_base_b
                                        ; -- End function
	.set _ZN9rocsparseL22bsrxmvn_general_kernelILj256ELj16E21rocsparse_complex_numIdEliS2_S2_S2_EEv20rocsparse_direction_NS_24const_host_device_scalarIT1_EET3_PKS7_PKT2_SC_S9_PKT4_S7_PKT5_S6_PT6_21rocsparse_index_base_b.num_vgpr, 39
	.set _ZN9rocsparseL22bsrxmvn_general_kernelILj256ELj16E21rocsparse_complex_numIdEliS2_S2_S2_EEv20rocsparse_direction_NS_24const_host_device_scalarIT1_EET3_PKS7_PKT2_SC_S9_PKT4_S7_PKT5_S6_PT6_21rocsparse_index_base_b.num_agpr, 0
	.set _ZN9rocsparseL22bsrxmvn_general_kernelILj256ELj16E21rocsparse_complex_numIdEliS2_S2_S2_EEv20rocsparse_direction_NS_24const_host_device_scalarIT1_EET3_PKS7_PKT2_SC_S9_PKT4_S7_PKT5_S6_PT6_21rocsparse_index_base_b.numbered_sgpr, 32
	.set _ZN9rocsparseL22bsrxmvn_general_kernelILj256ELj16E21rocsparse_complex_numIdEliS2_S2_S2_EEv20rocsparse_direction_NS_24const_host_device_scalarIT1_EET3_PKS7_PKT2_SC_S9_PKT4_S7_PKT5_S6_PT6_21rocsparse_index_base_b.num_named_barrier, 0
	.set _ZN9rocsparseL22bsrxmvn_general_kernelILj256ELj16E21rocsparse_complex_numIdEliS2_S2_S2_EEv20rocsparse_direction_NS_24const_host_device_scalarIT1_EET3_PKS7_PKT2_SC_S9_PKT4_S7_PKT5_S6_PT6_21rocsparse_index_base_b.private_seg_size, 0
	.set _ZN9rocsparseL22bsrxmvn_general_kernelILj256ELj16E21rocsparse_complex_numIdEliS2_S2_S2_EEv20rocsparse_direction_NS_24const_host_device_scalarIT1_EET3_PKS7_PKT2_SC_S9_PKT4_S7_PKT5_S6_PT6_21rocsparse_index_base_b.uses_vcc, 1
	.set _ZN9rocsparseL22bsrxmvn_general_kernelILj256ELj16E21rocsparse_complex_numIdEliS2_S2_S2_EEv20rocsparse_direction_NS_24const_host_device_scalarIT1_EET3_PKS7_PKT2_SC_S9_PKT4_S7_PKT5_S6_PT6_21rocsparse_index_base_b.uses_flat_scratch, 0
	.set _ZN9rocsparseL22bsrxmvn_general_kernelILj256ELj16E21rocsparse_complex_numIdEliS2_S2_S2_EEv20rocsparse_direction_NS_24const_host_device_scalarIT1_EET3_PKS7_PKT2_SC_S9_PKT4_S7_PKT5_S6_PT6_21rocsparse_index_base_b.has_dyn_sized_stack, 0
	.set _ZN9rocsparseL22bsrxmvn_general_kernelILj256ELj16E21rocsparse_complex_numIdEliS2_S2_S2_EEv20rocsparse_direction_NS_24const_host_device_scalarIT1_EET3_PKS7_PKT2_SC_S9_PKT4_S7_PKT5_S6_PT6_21rocsparse_index_base_b.has_recursion, 0
	.set _ZN9rocsparseL22bsrxmvn_general_kernelILj256ELj16E21rocsparse_complex_numIdEliS2_S2_S2_EEv20rocsparse_direction_NS_24const_host_device_scalarIT1_EET3_PKS7_PKT2_SC_S9_PKT4_S7_PKT5_S6_PT6_21rocsparse_index_base_b.has_indirect_call, 0
	.section	.AMDGPU.csdata,"",@progbits
; Kernel info:
; codeLenInByte = 1568
; TotalNumSgprs: 34
; NumVgprs: 39
; ScratchSize: 0
; MemoryBound: 0
; FloatMode: 240
; IeeeMode: 1
; LDSByteSize: 0 bytes/workgroup (compile time only)
; SGPRBlocks: 0
; VGPRBlocks: 4
; NumSGPRsForWavesPerEU: 34
; NumVGPRsForWavesPerEU: 39
; Occupancy: 16
; WaveLimiterHint : 1
; COMPUTE_PGM_RSRC2:SCRATCH_EN: 0
; COMPUTE_PGM_RSRC2:USER_SGPR: 2
; COMPUTE_PGM_RSRC2:TRAP_HANDLER: 0
; COMPUTE_PGM_RSRC2:TGID_X_EN: 1
; COMPUTE_PGM_RSRC2:TGID_Y_EN: 0
; COMPUTE_PGM_RSRC2:TGID_Z_EN: 0
; COMPUTE_PGM_RSRC2:TIDIG_COMP_CNT: 0
	.section	.text._ZN9rocsparseL22bsrxmvn_general_kernelILj1024ELj32E21rocsparse_complex_numIdEliS2_S2_S2_EEv20rocsparse_direction_NS_24const_host_device_scalarIT1_EET3_PKS7_PKT2_SC_S9_PKT4_S7_PKT5_S6_PT6_21rocsparse_index_base_b,"axG",@progbits,_ZN9rocsparseL22bsrxmvn_general_kernelILj1024ELj32E21rocsparse_complex_numIdEliS2_S2_S2_EEv20rocsparse_direction_NS_24const_host_device_scalarIT1_EET3_PKS7_PKT2_SC_S9_PKT4_S7_PKT5_S6_PT6_21rocsparse_index_base_b,comdat
	.globl	_ZN9rocsparseL22bsrxmvn_general_kernelILj1024ELj32E21rocsparse_complex_numIdEliS2_S2_S2_EEv20rocsparse_direction_NS_24const_host_device_scalarIT1_EET3_PKS7_PKT2_SC_S9_PKT4_S7_PKT5_S6_PT6_21rocsparse_index_base_b ; -- Begin function _ZN9rocsparseL22bsrxmvn_general_kernelILj1024ELj32E21rocsparse_complex_numIdEliS2_S2_S2_EEv20rocsparse_direction_NS_24const_host_device_scalarIT1_EET3_PKS7_PKT2_SC_S9_PKT4_S7_PKT5_S6_PT6_21rocsparse_index_base_b
	.p2align	8
	.type	_ZN9rocsparseL22bsrxmvn_general_kernelILj1024ELj32E21rocsparse_complex_numIdEliS2_S2_S2_EEv20rocsparse_direction_NS_24const_host_device_scalarIT1_EET3_PKS7_PKT2_SC_S9_PKT4_S7_PKT5_S6_PT6_21rocsparse_index_base_b,@function
_ZN9rocsparseL22bsrxmvn_general_kernelILj1024ELj32E21rocsparse_complex_numIdEliS2_S2_S2_EEv20rocsparse_direction_NS_24const_host_device_scalarIT1_EET3_PKS7_PKT2_SC_S9_PKT4_S7_PKT5_S6_PT6_21rocsparse_index_base_b: ; @_ZN9rocsparseL22bsrxmvn_general_kernelILj1024ELj32E21rocsparse_complex_numIdEliS2_S2_S2_EEv20rocsparse_direction_NS_24const_host_device_scalarIT1_EET3_PKS7_PKT2_SC_S9_PKT4_S7_PKT5_S6_PT6_21rocsparse_index_base_b
; %bb.0:
	s_clause 0x1
	s_load_b64 s[12:13], s[0:1], 0x70
	s_load_b64 s[2:3], s[0:1], 0x8
	s_add_nc_u64 s[4:5], s[0:1], 8
	s_load_b64 s[6:7], s[0:1], 0x58
	s_wait_kmcnt 0x0
	s_bitcmp1_b32 s13, 0
	s_cselect_b32 s2, s4, s2
	s_cselect_b32 s3, s5, s3
	s_delay_alu instid0(SALU_CYCLE_1)
	v_dual_mov_b32 v1, s2 :: v_dual_mov_b32 v2, s3
	s_add_nc_u64 s[2:3], s[0:1], 0x58
	s_wait_alu 0xfffe
	s_cselect_b32 s2, s2, s6
	s_cselect_b32 s3, s3, s7
	flat_load_b128 v[1:4], v[1:2]
	s_wait_alu 0xfffe
	v_dual_mov_b32 v5, s2 :: v_dual_mov_b32 v6, s3
	flat_load_b128 v[5:8], v[5:6]
	s_wait_loadcnt_dscnt 0x101
	v_cmp_eq_f64_e32 vcc_lo, 0, v[1:2]
	v_cmp_eq_f64_e64 s2, 0, v[3:4]
	s_and_b32 s4, vcc_lo, s2
	s_mov_b32 s2, -1
	s_and_saveexec_b32 s3, s4
	s_cbranch_execz .LBB23_2
; %bb.1:
	s_wait_loadcnt_dscnt 0x0
	v_cmp_neq_f64_e32 vcc_lo, 1.0, v[5:6]
	v_cmp_neq_f64_e64 s2, 0, v[7:8]
	s_wait_alu 0xfffe
	s_or_b32 s2, vcc_lo, s2
	s_wait_alu 0xfffe
	s_or_not1_b32 s2, s2, exec_lo
.LBB23_2:
	s_wait_alu 0xfffe
	s_or_b32 exec_lo, exec_lo, s3
	s_and_saveexec_b32 s3, s2
	s_cbranch_execz .LBB23_25
; %bb.3:
	s_load_b64 s[2:3], s[0:1], 0x20
	s_wait_kmcnt 0x0
	s_cmp_eq_u64 s[2:3], 0
	s_cbranch_scc1 .LBB23_5
; %bb.4:
	s_mov_b32 s4, ttmp9
	s_ashr_i32 s5, ttmp9, 31
	s_delay_alu instid0(SALU_CYCLE_1) | instskip(NEXT) | instid1(SALU_CYCLE_1)
	s_lshl_b64 s[4:5], s[4:5], 2
	s_add_nc_u64 s[2:3], s[2:3], s[4:5]
	s_load_b32 s2, s[2:3], 0x0
	s_wait_kmcnt 0x0
	s_sub_co_i32 s22, s2, s12
	s_branch .LBB23_6
.LBB23_5:
	s_mov_b32 s22, ttmp9
.LBB23_6:
	s_load_b32 s14, s[0:1], 0x48
	v_lshrrev_b32_e32 v13, 5, v0
	s_wait_kmcnt 0x0
	s_delay_alu instid0(VALU_DEP_1)
	v_cmp_gt_i32_e32 vcc_lo, s14, v13
	s_and_b32 exec_lo, exec_lo, vcc_lo
	s_cbranch_execz .LBB23_25
; %bb.7:
	s_clause 0x2
	s_load_b256 s[4:11], s[0:1], 0x28
	s_load_b64 s[16:17], s[0:1], 0x68
	s_load_b64 s[18:19], s[0:1], 0x50
	v_dual_mov_b32 v14, 0 :: v_dual_and_b32 v15, 31, v0
	v_mbcnt_lo_u32_b32 v0, -1, 0
	s_wait_loadcnt_dscnt 0x0
	v_cmp_eq_f64_e32 vcc_lo, 0, v[5:6]
	v_cmp_eq_f64_e64 s2, 0, v[7:8]
	s_ashr_i32 s23, s22, 31
	s_load_b32 s3, s[0:1], 0x0
	v_xor_b32_e32 v9, 16, v0
	v_xor_b32_e32 v10, 8, v0
	s_lshl_b64 s[24:25], s[22:23], 3
	v_xor_b32_e32 v11, 4, v0
	v_xor_b32_e32 v12, 2, v0
	v_cmp_gt_i32_e64 s1, 32, v9
	v_xor_b32_e32 v16, 1, v0
	s_mov_b32 s13, 0
	v_mul_lo_u32 v27, s14, v13
	v_mul_lo_u32 v28, s14, v15
	s_wait_kmcnt 0x0
	s_add_nc_u64 s[4:5], s[4:5], s[24:25]
	v_cndmask_b32_e64 v9, v0, v9, s1
	v_cmp_gt_i32_e64 s1, 32, v10
	s_add_nc_u64 s[24:25], s[6:7], s[24:25]
	s_cmp_eq_u64 s[6:7], 0
	s_add_nc_u64 s[6:7], s[4:5], 8
	s_mov_b32 s15, s13
	s_cselect_b32 s7, s7, s25
	s_cselect_b32 s6, s6, s24
	s_load_b64 s[26:27], s[4:5], 0x0
	s_load_b64 s[28:29], s[6:7], 0x0
	v_cndmask_b32_e64 v10, v0, v10, s1
	v_cmp_gt_i32_e64 s1, 32, v11
	v_cmp_gt_u32_e64 s0, s14, v15
	s_mul_u64 s[20:21], s[14:15], s[14:15]
	s_cmp_lg_u32 s3, 0
	v_lshlrev_b32_e32 v23, 2, v10
	v_cndmask_b32_e64 v11, v0, v11, s1
	v_cmp_gt_i32_e64 s1, 32, v12
	s_cselect_b32 s15, -1, 0
	v_lshlrev_b32_e32 v24, 2, v11
	s_wait_alu 0xf1ff
	v_cndmask_b32_e64 v12, v0, v12, s1
	v_cmp_gt_i32_e64 s1, 32, v16
	s_and_b32 s24, vcc_lo, s2
	v_lshlrev_b32_e32 v25, 2, v12
	v_cndmask_b32_e64 v16, v0, v16, s1
	s_wait_kmcnt 0x0
	v_cmp_lt_i64_e64 s25, s[26:27], s[28:29]
	v_lshlrev_b32_e32 v0, 2, v9
	v_cmp_eq_u32_e64 s1, 31, v15
	s_sub_nc_u64 s[4:5], s[26:27], s[12:13]
	v_lshlrev_b32_e32 v26, 2, v16
	v_mov_b32_e32 v16, v14
	s_sub_nc_u64 s[6:7], s[28:29], s[12:13]
	s_mul_i32 s26, s22, s14
	s_mul_u64 s[2:3], s[4:5], s[20:21]
	s_lshl_b32 s27, s14, 5
	s_branch .LBB23_9
.LBB23_8:                               ;   in Loop: Header=BB23_9 Depth=1
	s_wait_alu 0xfffe
	s_or_b32 exec_lo, exec_lo, s22
	v_add_nc_u32_e32 v13, 32, v13
	v_add_nc_u32_e32 v27, s27, v27
	s_delay_alu instid0(VALU_DEP_2) | instskip(SKIP_1) | instid1(SALU_CYCLE_1)
	v_cmp_le_i32_e32 vcc_lo, s14, v13
	s_or_b32 s13, vcc_lo, s13
	s_and_not1_b32 exec_lo, exec_lo, s13
	s_cbranch_execz .LBB23_25
.LBB23_9:                               ; =>This Loop Header: Depth=1
                                        ;     Child Loop BB23_13 Depth 2
                                        ;       Child Loop BB23_16 Depth 3
	v_mov_b32_e32 v9, 0
	v_dual_mov_b32 v10, 0 :: v_dual_mov_b32 v11, 0
	v_mov_b32_e32 v12, 0
	s_and_not1_b32 vcc_lo, exec_lo, s25
	s_wait_alu 0xfffe
	s_cbranch_vccnz .LBB23_20
; %bb.10:                               ;   in Loop: Header=BB23_9 Depth=1
	s_wait_dscnt 0x3
	v_ashrrev_i32_e32 v17, 31, v27
	v_mov_b32_e32 v9, 0
	v_add_co_u32 v29, vcc_lo, s2, v27
	v_dual_mov_b32 v10, 0 :: v_dual_mov_b32 v11, 0
	v_mov_b32_e32 v12, 0
	s_wait_alu 0xfffd
	v_add_co_ci_u32_e64 v30, null, s3, v17, vcc_lo
	s_mov_b64 s[22:23], s[4:5]
	s_branch .LBB23_13
.LBB23_11:                              ;   in Loop: Header=BB23_13 Depth=2
	s_or_b32 exec_lo, exec_lo, s29
.LBB23_12:                              ;   in Loop: Header=BB23_13 Depth=2
	s_wait_alu 0xfffe
	s_or_b32 exec_lo, exec_lo, s28
	s_add_nc_u64 s[22:23], s[22:23], 1
	v_add_co_u32 v29, vcc_lo, v29, s20
	s_wait_alu 0xfffe
	v_cmp_ge_i64_e64 s28, s[22:23], s[6:7]
	s_wait_alu 0xfffd
	v_add_co_ci_u32_e64 v30, null, s21, v30, vcc_lo
	s_and_b32 vcc_lo, exec_lo, s28
	s_wait_alu 0xfffe
	s_cbranch_vccnz .LBB23_20
.LBB23_13:                              ;   Parent Loop BB23_9 Depth=1
                                        ; =>  This Loop Header: Depth=2
                                        ;       Child Loop BB23_16 Depth 3
	s_and_saveexec_b32 s28, s0
	s_cbranch_execz .LBB23_12
; %bb.14:                               ;   in Loop: Header=BB23_13 Depth=2
	s_wait_alu 0xfffe
	s_lshl_b64 s[30:31], s[22:23], 2
	s_wait_dscnt 0x2
	v_mad_co_u64_u32 v[17:18], null, s20, s22, v[13:14]
	s_wait_alu 0xfffe
	s_add_nc_u64 s[30:31], s[8:9], s[30:31]
	s_wait_dscnt 0x0
	v_dual_mov_b32 v31, v28 :: v_dual_mov_b32 v20, v16
	s_load_b32 s29, s[30:31], 0x0
	s_mul_i32 s30, s21, s22
	s_mul_i32 s31, s20, s23
	v_mov_b32_e32 v19, v15
	s_wait_alu 0xfffe
	v_add3_u32 v18, s31, s30, v18
	s_wait_kmcnt 0x0
	s_sub_co_i32 s29, s29, s12
	s_wait_alu 0xfffe
	s_mul_i32 s30, s29, s14
	s_mov_b32 s29, 0
	s_branch .LBB23_16
.LBB23_15:                              ;   in Loop: Header=BB23_16 Depth=3
	v_add_nc_u32_e32 v32, s30, v19
	s_delay_alu instid0(VALU_DEP_2) | instskip(SKIP_1) | instid1(VALU_DEP_3)
	v_lshlrev_b64_e32 v[21:22], 4, v[21:22]
	v_add_nc_u32_e32 v31, s27, v31
	v_ashrrev_i32_e32 v33, 31, v32
	s_delay_alu instid0(VALU_DEP_3) | instskip(SKIP_1) | instid1(VALU_DEP_4)
	v_add_co_u32 v21, vcc_lo, s10, v21
	s_wait_alu 0xfffd
	v_add_co_ci_u32_e64 v22, null, s11, v22, vcc_lo
	s_delay_alu instid0(VALU_DEP_3) | instskip(NEXT) | instid1(VALU_DEP_1)
	v_lshlrev_b64_e32 v[32:33], 4, v[32:33]
	v_add_co_u32 v36, vcc_lo, s18, v32
	s_wait_alu 0xfffd
	s_delay_alu instid0(VALU_DEP_2)
	v_add_co_ci_u32_e64 v37, null, s19, v33, vcc_lo
	v_add_co_u32 v19, vcc_lo, v19, 32
	global_load_b128 v[32:35], v[21:22], off
	global_load_b128 v[36:39], v[36:37], off
	s_wait_alu 0xfffd
	v_add_co_ci_u32_e64 v20, null, 0, v20, vcc_lo
	v_cmp_le_i32_e32 vcc_lo, s14, v19
	s_or_b32 s29, vcc_lo, s29
	s_wait_loadcnt 0x0
	v_fma_f64 v[11:12], v[32:33], v[36:37], v[11:12]
	v_fma_f64 v[9:10], v[34:35], v[36:37], v[9:10]
	s_delay_alu instid0(VALU_DEP_2) | instskip(NEXT) | instid1(VALU_DEP_2)
	v_fma_f64 v[11:12], -v[34:35], v[38:39], v[11:12]
	v_fma_f64 v[9:10], v[32:33], v[38:39], v[9:10]
	s_wait_alu 0xfffe
	s_and_not1_b32 exec_lo, exec_lo, s29
	s_cbranch_execz .LBB23_11
.LBB23_16:                              ;   Parent Loop BB23_9 Depth=1
                                        ;     Parent Loop BB23_13 Depth=2
                                        ; =>    This Inner Loop Header: Depth=3
	s_and_b32 vcc_lo, exec_lo, s15
	s_wait_alu 0xfffe
	s_cbranch_vccz .LBB23_18
; %bb.17:                               ;   in Loop: Header=BB23_16 Depth=3
	v_ashrrev_i32_e32 v22, 31, v31
	v_add_co_u32 v21, vcc_lo, v17, v31
	s_wait_alu 0xfffd
	s_delay_alu instid0(VALU_DEP_2)
	v_add_co_ci_u32_e64 v22, null, v18, v22, vcc_lo
	s_cbranch_execnz .LBB23_15
	s_branch .LBB23_19
.LBB23_18:                              ;   in Loop: Header=BB23_16 Depth=3
                                        ; implicit-def: $vgpr21_vgpr22
.LBB23_19:                              ;   in Loop: Header=BB23_16 Depth=3
	v_add_co_u32 v21, vcc_lo, v29, v19
	s_wait_alu 0xfffd
	v_add_co_ci_u32_e64 v22, null, v30, v20, vcc_lo
	s_branch .LBB23_15
.LBB23_20:                              ;   in Loop: Header=BB23_9 Depth=1
	s_wait_dscnt 0x3
	ds_bpermute_b32 v17, v0, v11
	s_wait_dscnt 0x3
	ds_bpermute_b32 v18, v0, v12
	;; [unrolled: 2-line block ×4, first 2 shown]
	s_wait_dscnt 0x2
	v_add_f64_e32 v[11:12], v[11:12], v[17:18]
	s_wait_dscnt 0x0
	v_add_f64_e32 v[9:10], v[9:10], v[19:20]
	ds_bpermute_b32 v17, v23, v11
	ds_bpermute_b32 v18, v23, v12
	ds_bpermute_b32 v19, v23, v9
	ds_bpermute_b32 v20, v23, v10
	s_wait_dscnt 0x2
	v_add_f64_e32 v[11:12], v[11:12], v[17:18]
	s_wait_dscnt 0x0
	v_add_f64_e32 v[9:10], v[9:10], v[19:20]
	ds_bpermute_b32 v17, v24, v11
	ds_bpermute_b32 v18, v24, v12
	ds_bpermute_b32 v19, v24, v9
	ds_bpermute_b32 v20, v24, v10
	;; [unrolled: 8-line block ×4, first 2 shown]
	s_and_saveexec_b32 s22, s1
	s_cbranch_execz .LBB23_8
; %bb.21:                               ;   in Loop: Header=BB23_9 Depth=1
	s_wait_dscnt 0x0
	v_add_f64_e32 v[11:12], v[11:12], v[19:20]
	v_add_f64_e32 v[17:18], v[9:10], v[17:18]
	s_delay_alu instid0(VALU_DEP_2) | instskip(SKIP_1) | instid1(VALU_DEP_2)
	v_mul_f64_e64 v[9:10], v[11:12], -v[3:4]
	v_mul_f64_e32 v[11:12], v[1:2], v[11:12]
	v_fma_f64 v[9:10], v[1:2], v[17:18], v[9:10]
	s_delay_alu instid0(VALU_DEP_2) | instskip(SKIP_2) | instid1(VALU_DEP_1)
	v_fma_f64 v[11:12], v[3:4], v[17:18], v[11:12]
	s_wait_alu 0xfffe
	v_add_nc_u32_e32 v17, s26, v13
	v_ashrrev_i32_e32 v18, 31, v17
	s_and_saveexec_b32 s23, s24
	s_wait_alu 0xfffe
	s_xor_b32 s23, exec_lo, s23
	s_cbranch_execz .LBB23_23
; %bb.22:                               ;   in Loop: Header=BB23_9 Depth=1
	v_lshlrev_b64_e32 v[17:18], 4, v[17:18]
	s_delay_alu instid0(VALU_DEP_1) | instskip(SKIP_1) | instid1(VALU_DEP_2)
	v_add_co_u32 v17, vcc_lo, s16, v17
	s_wait_alu 0xfffd
	v_add_co_ci_u32_e64 v18, null, s17, v18, vcc_lo
	global_store_b128 v[17:18], v[9:12], off
                                        ; implicit-def: $vgpr17
                                        ; implicit-def: $vgpr9_vgpr10
.LBB23_23:                              ;   in Loop: Header=BB23_9 Depth=1
	s_wait_alu 0xfffe
	s_and_not1_saveexec_b32 s23, s23
	s_cbranch_execz .LBB23_8
; %bb.24:                               ;   in Loop: Header=BB23_9 Depth=1
	v_lshlrev_b64_e32 v[17:18], 4, v[17:18]
	s_delay_alu instid0(VALU_DEP_1) | instskip(SKIP_1) | instid1(VALU_DEP_2)
	v_add_co_u32 v21, vcc_lo, s16, v17
	s_wait_alu 0xfffd
	v_add_co_ci_u32_e64 v22, null, s17, v18, vcc_lo
	global_load_b128 v[17:20], v[21:22], off
	s_wait_loadcnt 0x0
	v_fma_f64 v[9:10], v[5:6], v[17:18], v[9:10]
	v_fma_f64 v[11:12], v[7:8], v[17:18], v[11:12]
	s_delay_alu instid0(VALU_DEP_2) | instskip(NEXT) | instid1(VALU_DEP_2)
	v_fma_f64 v[9:10], -v[7:8], v[19:20], v[9:10]
	v_fma_f64 v[11:12], v[5:6], v[19:20], v[11:12]
	global_store_b128 v[21:22], v[9:12], off
	s_branch .LBB23_8
.LBB23_25:
	s_endpgm
	.section	.rodata,"a",@progbits
	.p2align	6, 0x0
	.amdhsa_kernel _ZN9rocsparseL22bsrxmvn_general_kernelILj1024ELj32E21rocsparse_complex_numIdEliS2_S2_S2_EEv20rocsparse_direction_NS_24const_host_device_scalarIT1_EET3_PKS7_PKT2_SC_S9_PKT4_S7_PKT5_S6_PT6_21rocsparse_index_base_b
		.amdhsa_group_segment_fixed_size 0
		.amdhsa_private_segment_fixed_size 0
		.amdhsa_kernarg_size 120
		.amdhsa_user_sgpr_count 2
		.amdhsa_user_sgpr_dispatch_ptr 0
		.amdhsa_user_sgpr_queue_ptr 0
		.amdhsa_user_sgpr_kernarg_segment_ptr 1
		.amdhsa_user_sgpr_dispatch_id 0
		.amdhsa_user_sgpr_private_segment_size 0
		.amdhsa_wavefront_size32 1
		.amdhsa_uses_dynamic_stack 0
		.amdhsa_enable_private_segment 0
		.amdhsa_system_sgpr_workgroup_id_x 1
		.amdhsa_system_sgpr_workgroup_id_y 0
		.amdhsa_system_sgpr_workgroup_id_z 0
		.amdhsa_system_sgpr_workgroup_info 0
		.amdhsa_system_vgpr_workitem_id 0
		.amdhsa_next_free_vgpr 40
		.amdhsa_next_free_sgpr 32
		.amdhsa_reserve_vcc 1
		.amdhsa_float_round_mode_32 0
		.amdhsa_float_round_mode_16_64 0
		.amdhsa_float_denorm_mode_32 3
		.amdhsa_float_denorm_mode_16_64 3
		.amdhsa_fp16_overflow 0
		.amdhsa_workgroup_processor_mode 1
		.amdhsa_memory_ordered 1
		.amdhsa_forward_progress 1
		.amdhsa_inst_pref_size 13
		.amdhsa_round_robin_scheduling 0
		.amdhsa_exception_fp_ieee_invalid_op 0
		.amdhsa_exception_fp_denorm_src 0
		.amdhsa_exception_fp_ieee_div_zero 0
		.amdhsa_exception_fp_ieee_overflow 0
		.amdhsa_exception_fp_ieee_underflow 0
		.amdhsa_exception_fp_ieee_inexact 0
		.amdhsa_exception_int_div_zero 0
	.end_amdhsa_kernel
	.section	.text._ZN9rocsparseL22bsrxmvn_general_kernelILj1024ELj32E21rocsparse_complex_numIdEliS2_S2_S2_EEv20rocsparse_direction_NS_24const_host_device_scalarIT1_EET3_PKS7_PKT2_SC_S9_PKT4_S7_PKT5_S6_PT6_21rocsparse_index_base_b,"axG",@progbits,_ZN9rocsparseL22bsrxmvn_general_kernelILj1024ELj32E21rocsparse_complex_numIdEliS2_S2_S2_EEv20rocsparse_direction_NS_24const_host_device_scalarIT1_EET3_PKS7_PKT2_SC_S9_PKT4_S7_PKT5_S6_PT6_21rocsparse_index_base_b,comdat
.Lfunc_end23:
	.size	_ZN9rocsparseL22bsrxmvn_general_kernelILj1024ELj32E21rocsparse_complex_numIdEliS2_S2_S2_EEv20rocsparse_direction_NS_24const_host_device_scalarIT1_EET3_PKS7_PKT2_SC_S9_PKT4_S7_PKT5_S6_PT6_21rocsparse_index_base_b, .Lfunc_end23-_ZN9rocsparseL22bsrxmvn_general_kernelILj1024ELj32E21rocsparse_complex_numIdEliS2_S2_S2_EEv20rocsparse_direction_NS_24const_host_device_scalarIT1_EET3_PKS7_PKT2_SC_S9_PKT4_S7_PKT5_S6_PT6_21rocsparse_index_base_b
                                        ; -- End function
	.set _ZN9rocsparseL22bsrxmvn_general_kernelILj1024ELj32E21rocsparse_complex_numIdEliS2_S2_S2_EEv20rocsparse_direction_NS_24const_host_device_scalarIT1_EET3_PKS7_PKT2_SC_S9_PKT4_S7_PKT5_S6_PT6_21rocsparse_index_base_b.num_vgpr, 40
	.set _ZN9rocsparseL22bsrxmvn_general_kernelILj1024ELj32E21rocsparse_complex_numIdEliS2_S2_S2_EEv20rocsparse_direction_NS_24const_host_device_scalarIT1_EET3_PKS7_PKT2_SC_S9_PKT4_S7_PKT5_S6_PT6_21rocsparse_index_base_b.num_agpr, 0
	.set _ZN9rocsparseL22bsrxmvn_general_kernelILj1024ELj32E21rocsparse_complex_numIdEliS2_S2_S2_EEv20rocsparse_direction_NS_24const_host_device_scalarIT1_EET3_PKS7_PKT2_SC_S9_PKT4_S7_PKT5_S6_PT6_21rocsparse_index_base_b.numbered_sgpr, 32
	.set _ZN9rocsparseL22bsrxmvn_general_kernelILj1024ELj32E21rocsparse_complex_numIdEliS2_S2_S2_EEv20rocsparse_direction_NS_24const_host_device_scalarIT1_EET3_PKS7_PKT2_SC_S9_PKT4_S7_PKT5_S6_PT6_21rocsparse_index_base_b.num_named_barrier, 0
	.set _ZN9rocsparseL22bsrxmvn_general_kernelILj1024ELj32E21rocsparse_complex_numIdEliS2_S2_S2_EEv20rocsparse_direction_NS_24const_host_device_scalarIT1_EET3_PKS7_PKT2_SC_S9_PKT4_S7_PKT5_S6_PT6_21rocsparse_index_base_b.private_seg_size, 0
	.set _ZN9rocsparseL22bsrxmvn_general_kernelILj1024ELj32E21rocsparse_complex_numIdEliS2_S2_S2_EEv20rocsparse_direction_NS_24const_host_device_scalarIT1_EET3_PKS7_PKT2_SC_S9_PKT4_S7_PKT5_S6_PT6_21rocsparse_index_base_b.uses_vcc, 1
	.set _ZN9rocsparseL22bsrxmvn_general_kernelILj1024ELj32E21rocsparse_complex_numIdEliS2_S2_S2_EEv20rocsparse_direction_NS_24const_host_device_scalarIT1_EET3_PKS7_PKT2_SC_S9_PKT4_S7_PKT5_S6_PT6_21rocsparse_index_base_b.uses_flat_scratch, 0
	.set _ZN9rocsparseL22bsrxmvn_general_kernelILj1024ELj32E21rocsparse_complex_numIdEliS2_S2_S2_EEv20rocsparse_direction_NS_24const_host_device_scalarIT1_EET3_PKS7_PKT2_SC_S9_PKT4_S7_PKT5_S6_PT6_21rocsparse_index_base_b.has_dyn_sized_stack, 0
	.set _ZN9rocsparseL22bsrxmvn_general_kernelILj1024ELj32E21rocsparse_complex_numIdEliS2_S2_S2_EEv20rocsparse_direction_NS_24const_host_device_scalarIT1_EET3_PKS7_PKT2_SC_S9_PKT4_S7_PKT5_S6_PT6_21rocsparse_index_base_b.has_recursion, 0
	.set _ZN9rocsparseL22bsrxmvn_general_kernelILj1024ELj32E21rocsparse_complex_numIdEliS2_S2_S2_EEv20rocsparse_direction_NS_24const_host_device_scalarIT1_EET3_PKS7_PKT2_SC_S9_PKT4_S7_PKT5_S6_PT6_21rocsparse_index_base_b.has_indirect_call, 0
	.section	.AMDGPU.csdata,"",@progbits
; Kernel info:
; codeLenInByte = 1640
; TotalNumSgprs: 34
; NumVgprs: 40
; ScratchSize: 0
; MemoryBound: 0
; FloatMode: 240
; IeeeMode: 1
; LDSByteSize: 0 bytes/workgroup (compile time only)
; SGPRBlocks: 0
; VGPRBlocks: 4
; NumSGPRsForWavesPerEU: 34
; NumVGPRsForWavesPerEU: 40
; Occupancy: 16
; WaveLimiterHint : 1
; COMPUTE_PGM_RSRC2:SCRATCH_EN: 0
; COMPUTE_PGM_RSRC2:USER_SGPR: 2
; COMPUTE_PGM_RSRC2:TRAP_HANDLER: 0
; COMPUTE_PGM_RSRC2:TGID_X_EN: 1
; COMPUTE_PGM_RSRC2:TGID_Y_EN: 0
; COMPUTE_PGM_RSRC2:TGID_Z_EN: 0
; COMPUTE_PGM_RSRC2:TIDIG_COMP_CNT: 0
	.section	.text._ZN9rocsparseL22bsrxmvn_general_kernelILj64ELj8EfllfffEEv20rocsparse_direction_NS_24const_host_device_scalarIT1_EET3_PKS5_PKT2_SA_S7_PKT4_S5_PKT5_S4_PT6_21rocsparse_index_base_b,"axG",@progbits,_ZN9rocsparseL22bsrxmvn_general_kernelILj64ELj8EfllfffEEv20rocsparse_direction_NS_24const_host_device_scalarIT1_EET3_PKS5_PKT2_SA_S7_PKT4_S5_PKT5_S4_PT6_21rocsparse_index_base_b,comdat
	.globl	_ZN9rocsparseL22bsrxmvn_general_kernelILj64ELj8EfllfffEEv20rocsparse_direction_NS_24const_host_device_scalarIT1_EET3_PKS5_PKT2_SA_S7_PKT4_S5_PKT5_S4_PT6_21rocsparse_index_base_b ; -- Begin function _ZN9rocsparseL22bsrxmvn_general_kernelILj64ELj8EfllfffEEv20rocsparse_direction_NS_24const_host_device_scalarIT1_EET3_PKS5_PKT2_SA_S7_PKT4_S5_PKT5_S4_PT6_21rocsparse_index_base_b
	.p2align	8
	.type	_ZN9rocsparseL22bsrxmvn_general_kernelILj64ELj8EfllfffEEv20rocsparse_direction_NS_24const_host_device_scalarIT1_EET3_PKS5_PKT2_SA_S7_PKT4_S5_PKT5_S4_PT6_21rocsparse_index_base_b,@function
_ZN9rocsparseL22bsrxmvn_general_kernelILj64ELj8EfllfffEEv20rocsparse_direction_NS_24const_host_device_scalarIT1_EET3_PKS5_PKT2_SA_S7_PKT4_S5_PKT5_S4_PT6_21rocsparse_index_base_b: ; @_ZN9rocsparseL22bsrxmvn_general_kernelILj64ELj8EfllfffEEv20rocsparse_direction_NS_24const_host_device_scalarIT1_EET3_PKS5_PKT2_SA_S7_PKT4_S5_PKT5_S4_PT6_21rocsparse_index_base_b
; %bb.0:
	s_clause 0x2
	s_load_b64 s[12:13], s[0:1], 0x60
	s_load_b64 s[14:15], s[0:1], 0x8
	s_load_b64 s[16:17], s[0:1], 0x50
	s_wait_kmcnt 0x0
	s_bitcmp1_b32 s13, 0
	s_cselect_b32 s2, -1, 0
	s_delay_alu instid0(SALU_CYCLE_1)
	s_and_b32 vcc_lo, exec_lo, s2
	s_xor_b32 s2, s2, -1
	s_cbranch_vccnz .LBB24_2
; %bb.1:
	s_load_b32 s14, s[14:15], 0x0
.LBB24_2:
	s_and_not1_b32 vcc_lo, exec_lo, s2
	s_cbranch_vccnz .LBB24_4
; %bb.3:
	s_load_b32 s16, s[16:17], 0x0
.LBB24_4:
	s_wait_kmcnt 0x0
	s_cmp_neq_f32 s14, 0
	s_cselect_b32 s2, -1, 0
	s_cmp_neq_f32 s16, 1.0
	s_cselect_b32 s3, -1, 0
	s_delay_alu instid0(SALU_CYCLE_1)
	s_or_b32 s2, s2, s3
	s_mov_b32 s3, 0
	s_and_not1_b32 vcc_lo, exec_lo, s2
	s_cbranch_vccnz .LBB24_26
; %bb.5:
	s_load_b64 s[4:5], s[0:1], 0x18
	s_mov_b32 s2, ttmp9
	s_mov_b32 s13, s3
	s_wait_kmcnt 0x0
	s_cmp_eq_u64 s[4:5], 0
	s_cbranch_scc1 .LBB24_7
; %bb.6:
	s_lshl_b64 s[2:3], s[2:3], 3
	s_delay_alu instid0(SALU_CYCLE_1)
	s_add_nc_u64 s[2:3], s[4:5], s[2:3]
	s_load_b64 s[2:3], s[2:3], 0x0
	s_wait_kmcnt 0x0
	s_sub_nc_u64 s[2:3], s[2:3], s[12:13]
.LBB24_7:
	s_load_b64 s[18:19], s[0:1], 0x40
	v_lshrrev_b32_e32 v1, 3, v0
	v_mov_b32_e32 v2, 0
	s_mov_b32 s4, exec_lo
	s_wait_kmcnt 0x0
	s_delay_alu instid0(VALU_DEP_1)
	v_cmpx_gt_i64_e64 s[18:19], v[1:2]
	s_cbranch_execz .LBB24_26
; %bb.8:
	s_clause 0x2
	s_load_b256 s[4:11], s[0:1], 0x20
	s_load_b64 s[20:21], s[0:1], 0x48
	s_load_b64 s[22:23], s[0:1], 0x58
	s_lshl_b64 s[24:25], s[2:3], 3
	v_dual_mov_b32 v4, v2 :: v_dual_and_b32 v3, 7, v0
	v_mbcnt_lo_u32_b32 v0, -1, 0
	s_load_b32 s17, s[0:1], 0x0
	s_mul_u64 s[26:27], s[2:3], s[18:19]
	s_delay_alu instid0(VALU_DEP_2)
	v_cmp_eq_u32_e64 s1, 7, v3
	v_cmp_gt_u64_e64 s0, s[18:19], v[3:4]
	v_xor_b32_e32 v5, 4, v0
	v_xor_b32_e32 v6, 2, v0
	;; [unrolled: 1-line block ×3, first 2 shown]
	s_mov_b32 s15, 0
	s_delay_alu instid0(VALU_DEP_3)
	v_cmp_gt_i32_e32 vcc_lo, 32, v5
	v_lshlrev_b32_e32 v8, 2, v3
	s_wait_kmcnt 0x0
	s_add_nc_u64 s[4:5], s[4:5], s[24:25]
	v_cndmask_b32_e32 v5, v0, v5, vcc_lo
	s_load_b64 s[28:29], s[4:5], 0x0
	v_cmp_gt_i32_e32 vcc_lo, 32, v6
	s_add_nc_u64 s[2:3], s[6:7], s[24:25]
	s_cmp_eq_u64 s[6:7], 0
	s_add_nc_u64 s[4:5], s[4:5], 8
	s_wait_alu 0xfffd
	v_cndmask_b32_e32 v9, v0, v6, vcc_lo
	v_cmp_gt_i32_e32 vcc_lo, 32, v7
	s_cselect_b32 s3, s5, s3
	s_cselect_b32 s2, s4, s2
	s_cmp_lg_u32 s17, 0
	s_load_b64 s[24:25], s[2:3], 0x0
	v_dual_cndmask_b32 v7, v0, v7 :: v_dual_lshlrev_b32 v0, 2, v5
	v_lshlrev_b32_e32 v17, 2, v9
	s_cselect_b32 s3, -1, 0
	s_cmp_eq_f32 s16, 0
	s_delay_alu instid0(VALU_DEP_2) | instskip(SKIP_3) | instid1(SALU_CYCLE_1)
	v_lshlrev_b32_e32 v18, 2, v7
	s_cselect_b32 s17, -1, 0
	s_wait_kmcnt 0x0
	s_sub_nc_u64 s[4:5], s[28:29], s[12:13]
	v_mad_co_u64_u32 v[5:6], null, s18, s4, v[1:2]
	s_mul_i32 s2, s19, s4
	s_mul_i32 s6, s18, s5
	v_cmp_lt_i64_e64 s33, s[28:29], s[24:25]
	v_add3_u32 v7, s6, s2, v6
	v_mul_lo_u32 v9, s19, v5
	v_mad_co_u64_u32 v[5:6], null, s18, v5, 0
	s_lshl_b64 s[6:7], s[26:27], 2
	v_mul_lo_u32 v10, s18, v7
	v_add_co_u32 v7, s2, s20, v8
	s_wait_alu 0xf1ff
	v_add_co_ci_u32_e64 v8, null, s21, 0, s2
	s_wait_alu 0xfffe
	s_add_nc_u64 s[6:7], s[22:23], s[6:7]
	s_sub_nc_u64 s[20:21], s[24:25], s[12:13]
	s_lshl_b64 s[22:23], s[18:19], 2
	v_add3_u32 v6, v6, v10, v9
	s_lshl_b64 s[24:25], s[18:19], 3
	s_mul_u64 s[26:27], s[18:19], s[18:19]
	s_branch .LBB24_10
.LBB24_9:                               ;   in Loop: Header=BB24_10 Depth=1
	s_wait_alu 0xfffe
	s_or_b32 exec_lo, exec_lo, s2
	v_add_co_u32 v1, vcc_lo, v1, 8
	s_wait_alu 0xfffd
	v_add_co_ci_u32_e64 v2, null, 0, v2, vcc_lo
	v_add_co_u32 v5, s2, v5, s24
	s_wait_alu 0xf1ff
	v_add_co_ci_u32_e64 v6, null, s25, v6, s2
	s_delay_alu instid0(VALU_DEP_3)
	v_cmp_le_i64_e32 vcc_lo, s[18:19], v[1:2]
	s_or_b32 s15, vcc_lo, s15
	s_wait_alu 0xfffe
	s_and_not1_b32 exec_lo, exec_lo, s15
	s_cbranch_execz .LBB24_26
.LBB24_10:                              ; =>This Loop Header: Depth=1
                                        ;     Child Loop BB24_14 Depth 2
                                        ;       Child Loop BB24_17 Depth 3
	v_mov_b32_e32 v19, 0
	s_and_not1_b32 vcc_lo, exec_lo, s33
	s_wait_alu 0xfffe
	s_cbranch_vccnz .LBB24_21
; %bb.11:                               ;   in Loop: Header=BB24_10 Depth=1
	s_wait_dscnt 0x0
	v_dual_mov_b32 v19, 0 :: v_dual_mov_b32 v10, v6
	v_mov_b32_e32 v9, v5
	s_mov_b64 s[28:29], s[4:5]
	s_branch .LBB24_14
.LBB24_12:                              ;   in Loop: Header=BB24_14 Depth=2
	s_or_b32 exec_lo, exec_lo, s35
.LBB24_13:                              ;   in Loop: Header=BB24_14 Depth=2
	s_delay_alu instid0(SALU_CYCLE_1)
	s_or_b32 exec_lo, exec_lo, s34
	s_wait_alu 0xfffe
	s_add_nc_u64 s[28:29], s[28:29], 1
	v_add_co_u32 v9, vcc_lo, v9, s26
	s_wait_alu 0xfffe
	v_cmp_ge_i64_e64 s2, s[28:29], s[20:21]
	s_wait_alu 0xfffd
	v_add_co_ci_u32_e64 v10, null, s27, v10, vcc_lo
	s_and_b32 vcc_lo, exec_lo, s2
	s_wait_alu 0xfffe
	s_cbranch_vccnz .LBB24_21
.LBB24_14:                              ;   Parent Loop BB24_10 Depth=1
                                        ; =>  This Loop Header: Depth=2
                                        ;       Child Loop BB24_17 Depth 3
	s_and_saveexec_b32 s34, s0
	s_cbranch_execz .LBB24_13
; %bb.15:                               ;   in Loop: Header=BB24_14 Depth=2
	s_wait_alu 0xfffe
	s_lshl_b64 s[30:31], s[28:29], 3
	v_dual_mov_b32 v14, v4 :: v_dual_mov_b32 v13, v3
	s_wait_alu 0xfffe
	s_add_nc_u64 s[30:31], s[8:9], s[30:31]
	s_mov_b32 s35, 0
	s_load_b64 s[30:31], s[30:31], 0x0
	s_wait_kmcnt 0x0
	s_sub_nc_u64 s[30:31], s[30:31], s[12:13]
	s_wait_alu 0xfffe
	v_mad_co_u64_u32 v[11:12], null, s22, s30, v[7:8]
	s_mul_i32 s2, s23, s30
	s_mul_i32 s30, s22, s31
	s_wait_alu 0xfffe
	v_add3_u32 v12, s30, s2, v12
	s_mul_u64 s[30:31], s[28:29], s[18:19]
	s_branch .LBB24_17
.LBB24_16:                              ;   in Loop: Header=BB24_17 Depth=3
	s_delay_alu instid0(VALU_DEP_1) | instskip(NEXT) | instid1(VALU_DEP_1)
	v_lshlrev_b64_e32 v[15:16], 2, v[15:16]
	v_add_co_u32 v15, vcc_lo, s10, v15
	s_wait_alu 0xfffd
	s_delay_alu instid0(VALU_DEP_2)
	v_add_co_ci_u32_e64 v16, null, s11, v16, vcc_lo
	v_add_co_u32 v13, vcc_lo, v13, 8
	global_load_b32 v20, v[11:12], off
	global_load_b32 v15, v[15:16], off
	s_wait_alu 0xfffd
	v_add_co_ci_u32_e64 v14, null, 0, v14, vcc_lo
	v_add_co_u32 v11, s2, v11, 32
	s_wait_alu 0xf1ff
	v_add_co_ci_u32_e64 v12, null, 0, v12, s2
	s_delay_alu instid0(VALU_DEP_3)
	v_cmp_le_i64_e32 vcc_lo, s[18:19], v[13:14]
	s_or_b32 s35, vcc_lo, s35
	s_wait_loadcnt 0x0
	v_fmac_f32_e32 v19, v15, v20
	s_and_not1_b32 exec_lo, exec_lo, s35
	s_cbranch_execz .LBB24_12
.LBB24_17:                              ;   Parent Loop BB24_10 Depth=1
                                        ;     Parent Loop BB24_14 Depth=2
                                        ; =>    This Inner Loop Header: Depth=3
	s_and_b32 vcc_lo, exec_lo, s3
	s_wait_alu 0xfffe
	s_cbranch_vccz .LBB24_19
; %bb.18:                               ;   in Loop: Header=BB24_17 Depth=3
	v_add_co_u32 v15, vcc_lo, v13, s30
	s_wait_alu 0xfffd
	v_add_co_ci_u32_e64 v16, null, s31, v14, vcc_lo
	s_delay_alu instid0(VALU_DEP_2) | instskip(NEXT) | instid1(VALU_DEP_2)
	v_mul_lo_u32 v20, v15, s19
	v_mul_lo_u32 v21, v16, s18
	v_mad_co_u64_u32 v[15:16], null, v15, s18, v[1:2]
	s_delay_alu instid0(VALU_DEP_1)
	v_add3_u32 v16, v21, v16, v20
	s_cbranch_execnz .LBB24_16
	s_branch .LBB24_20
.LBB24_19:                              ;   in Loop: Header=BB24_17 Depth=3
                                        ; implicit-def: $vgpr15_vgpr16
.LBB24_20:                              ;   in Loop: Header=BB24_17 Depth=3
	v_add_co_u32 v15, vcc_lo, v9, v13
	s_wait_alu 0xfffd
	v_add_co_ci_u32_e64 v16, null, v10, v14, vcc_lo
	s_branch .LBB24_16
.LBB24_21:                              ;   in Loop: Header=BB24_10 Depth=1
	ds_bpermute_b32 v9, v0, v19
	s_wait_dscnt 0x0
	v_add_f32_e32 v9, v19, v9
	ds_bpermute_b32 v10, v17, v9
	s_wait_dscnt 0x0
	v_add_f32_e32 v9, v9, v10
	ds_bpermute_b32 v10, v18, v9
	s_and_saveexec_b32 s2, s1
	s_cbranch_execz .LBB24_9
; %bb.22:                               ;   in Loop: Header=BB24_10 Depth=1
	s_wait_dscnt 0x0
	v_add_f32_e32 v11, v9, v10
	v_lshlrev_b64_e32 v[9:10], 2, v[1:2]
	s_and_b32 vcc_lo, exec_lo, s17
	s_delay_alu instid0(VALU_DEP_2)
	v_mul_f32_e32 v11, s14, v11
	s_wait_alu 0xfffe
	s_cbranch_vccz .LBB24_24
; %bb.23:                               ;   in Loop: Header=BB24_10 Depth=1
	s_delay_alu instid0(VALU_DEP_2)
	v_add_co_u32 v12, vcc_lo, s6, v9
	s_wait_alu 0xfffd
	v_add_co_ci_u32_e64 v13, null, s7, v10, vcc_lo
	global_store_b32 v[12:13], v11, off
	s_cbranch_execnz .LBB24_9
	s_branch .LBB24_25
.LBB24_24:                              ;   in Loop: Header=BB24_10 Depth=1
.LBB24_25:                              ;   in Loop: Header=BB24_10 Depth=1
	s_delay_alu instid0(VALU_DEP_2)
	v_add_co_u32 v9, vcc_lo, s6, v9
	s_wait_alu 0xfffd
	v_add_co_ci_u32_e64 v10, null, s7, v10, vcc_lo
	global_load_b32 v12, v[9:10], off
	s_wait_loadcnt 0x0
	v_fmac_f32_e32 v11, s16, v12
	global_store_b32 v[9:10], v11, off
	s_branch .LBB24_9
.LBB24_26:
	s_endpgm
	.section	.rodata,"a",@progbits
	.p2align	6, 0x0
	.amdhsa_kernel _ZN9rocsparseL22bsrxmvn_general_kernelILj64ELj8EfllfffEEv20rocsparse_direction_NS_24const_host_device_scalarIT1_EET3_PKS5_PKT2_SA_S7_PKT4_S5_PKT5_S4_PT6_21rocsparse_index_base_b
		.amdhsa_group_segment_fixed_size 0
		.amdhsa_private_segment_fixed_size 0
		.amdhsa_kernarg_size 104
		.amdhsa_user_sgpr_count 2
		.amdhsa_user_sgpr_dispatch_ptr 0
		.amdhsa_user_sgpr_queue_ptr 0
		.amdhsa_user_sgpr_kernarg_segment_ptr 1
		.amdhsa_user_sgpr_dispatch_id 0
		.amdhsa_user_sgpr_private_segment_size 0
		.amdhsa_wavefront_size32 1
		.amdhsa_uses_dynamic_stack 0
		.amdhsa_enable_private_segment 0
		.amdhsa_system_sgpr_workgroup_id_x 1
		.amdhsa_system_sgpr_workgroup_id_y 0
		.amdhsa_system_sgpr_workgroup_id_z 0
		.amdhsa_system_sgpr_workgroup_info 0
		.amdhsa_system_vgpr_workitem_id 0
		.amdhsa_next_free_vgpr 22
		.amdhsa_next_free_sgpr 36
		.amdhsa_reserve_vcc 1
		.amdhsa_float_round_mode_32 0
		.amdhsa_float_round_mode_16_64 0
		.amdhsa_float_denorm_mode_32 3
		.amdhsa_float_denorm_mode_16_64 3
		.amdhsa_fp16_overflow 0
		.amdhsa_workgroup_processor_mode 1
		.amdhsa_memory_ordered 1
		.amdhsa_forward_progress 1
		.amdhsa_inst_pref_size 10
		.amdhsa_round_robin_scheduling 0
		.amdhsa_exception_fp_ieee_invalid_op 0
		.amdhsa_exception_fp_denorm_src 0
		.amdhsa_exception_fp_ieee_div_zero 0
		.amdhsa_exception_fp_ieee_overflow 0
		.amdhsa_exception_fp_ieee_underflow 0
		.amdhsa_exception_fp_ieee_inexact 0
		.amdhsa_exception_int_div_zero 0
	.end_amdhsa_kernel
	.section	.text._ZN9rocsparseL22bsrxmvn_general_kernelILj64ELj8EfllfffEEv20rocsparse_direction_NS_24const_host_device_scalarIT1_EET3_PKS5_PKT2_SA_S7_PKT4_S5_PKT5_S4_PT6_21rocsparse_index_base_b,"axG",@progbits,_ZN9rocsparseL22bsrxmvn_general_kernelILj64ELj8EfllfffEEv20rocsparse_direction_NS_24const_host_device_scalarIT1_EET3_PKS5_PKT2_SA_S7_PKT4_S5_PKT5_S4_PT6_21rocsparse_index_base_b,comdat
.Lfunc_end24:
	.size	_ZN9rocsparseL22bsrxmvn_general_kernelILj64ELj8EfllfffEEv20rocsparse_direction_NS_24const_host_device_scalarIT1_EET3_PKS5_PKT2_SA_S7_PKT4_S5_PKT5_S4_PT6_21rocsparse_index_base_b, .Lfunc_end24-_ZN9rocsparseL22bsrxmvn_general_kernelILj64ELj8EfllfffEEv20rocsparse_direction_NS_24const_host_device_scalarIT1_EET3_PKS5_PKT2_SA_S7_PKT4_S5_PKT5_S4_PT6_21rocsparse_index_base_b
                                        ; -- End function
	.set _ZN9rocsparseL22bsrxmvn_general_kernelILj64ELj8EfllfffEEv20rocsparse_direction_NS_24const_host_device_scalarIT1_EET3_PKS5_PKT2_SA_S7_PKT4_S5_PKT5_S4_PT6_21rocsparse_index_base_b.num_vgpr, 22
	.set _ZN9rocsparseL22bsrxmvn_general_kernelILj64ELj8EfllfffEEv20rocsparse_direction_NS_24const_host_device_scalarIT1_EET3_PKS5_PKT2_SA_S7_PKT4_S5_PKT5_S4_PT6_21rocsparse_index_base_b.num_agpr, 0
	.set _ZN9rocsparseL22bsrxmvn_general_kernelILj64ELj8EfllfffEEv20rocsparse_direction_NS_24const_host_device_scalarIT1_EET3_PKS5_PKT2_SA_S7_PKT4_S5_PKT5_S4_PT6_21rocsparse_index_base_b.numbered_sgpr, 36
	.set _ZN9rocsparseL22bsrxmvn_general_kernelILj64ELj8EfllfffEEv20rocsparse_direction_NS_24const_host_device_scalarIT1_EET3_PKS5_PKT2_SA_S7_PKT4_S5_PKT5_S4_PT6_21rocsparse_index_base_b.num_named_barrier, 0
	.set _ZN9rocsparseL22bsrxmvn_general_kernelILj64ELj8EfllfffEEv20rocsparse_direction_NS_24const_host_device_scalarIT1_EET3_PKS5_PKT2_SA_S7_PKT4_S5_PKT5_S4_PT6_21rocsparse_index_base_b.private_seg_size, 0
	.set _ZN9rocsparseL22bsrxmvn_general_kernelILj64ELj8EfllfffEEv20rocsparse_direction_NS_24const_host_device_scalarIT1_EET3_PKS5_PKT2_SA_S7_PKT4_S5_PKT5_S4_PT6_21rocsparse_index_base_b.uses_vcc, 1
	.set _ZN9rocsparseL22bsrxmvn_general_kernelILj64ELj8EfllfffEEv20rocsparse_direction_NS_24const_host_device_scalarIT1_EET3_PKS5_PKT2_SA_S7_PKT4_S5_PKT5_S4_PT6_21rocsparse_index_base_b.uses_flat_scratch, 0
	.set _ZN9rocsparseL22bsrxmvn_general_kernelILj64ELj8EfllfffEEv20rocsparse_direction_NS_24const_host_device_scalarIT1_EET3_PKS5_PKT2_SA_S7_PKT4_S5_PKT5_S4_PT6_21rocsparse_index_base_b.has_dyn_sized_stack, 0
	.set _ZN9rocsparseL22bsrxmvn_general_kernelILj64ELj8EfllfffEEv20rocsparse_direction_NS_24const_host_device_scalarIT1_EET3_PKS5_PKT2_SA_S7_PKT4_S5_PKT5_S4_PT6_21rocsparse_index_base_b.has_recursion, 0
	.set _ZN9rocsparseL22bsrxmvn_general_kernelILj64ELj8EfllfffEEv20rocsparse_direction_NS_24const_host_device_scalarIT1_EET3_PKS5_PKT2_SA_S7_PKT4_S5_PKT5_S4_PT6_21rocsparse_index_base_b.has_indirect_call, 0
	.section	.AMDGPU.csdata,"",@progbits
; Kernel info:
; codeLenInByte = 1232
; TotalNumSgprs: 38
; NumVgprs: 22
; ScratchSize: 0
; MemoryBound: 0
; FloatMode: 240
; IeeeMode: 1
; LDSByteSize: 0 bytes/workgroup (compile time only)
; SGPRBlocks: 0
; VGPRBlocks: 2
; NumSGPRsForWavesPerEU: 38
; NumVGPRsForWavesPerEU: 22
; Occupancy: 16
; WaveLimiterHint : 0
; COMPUTE_PGM_RSRC2:SCRATCH_EN: 0
; COMPUTE_PGM_RSRC2:USER_SGPR: 2
; COMPUTE_PGM_RSRC2:TRAP_HANDLER: 0
; COMPUTE_PGM_RSRC2:TGID_X_EN: 1
; COMPUTE_PGM_RSRC2:TGID_Y_EN: 0
; COMPUTE_PGM_RSRC2:TGID_Z_EN: 0
; COMPUTE_PGM_RSRC2:TIDIG_COMP_CNT: 0
	.section	.text._ZN9rocsparseL22bsrxmvn_general_kernelILj256ELj16EfllfffEEv20rocsparse_direction_NS_24const_host_device_scalarIT1_EET3_PKS5_PKT2_SA_S7_PKT4_S5_PKT5_S4_PT6_21rocsparse_index_base_b,"axG",@progbits,_ZN9rocsparseL22bsrxmvn_general_kernelILj256ELj16EfllfffEEv20rocsparse_direction_NS_24const_host_device_scalarIT1_EET3_PKS5_PKT2_SA_S7_PKT4_S5_PKT5_S4_PT6_21rocsparse_index_base_b,comdat
	.globl	_ZN9rocsparseL22bsrxmvn_general_kernelILj256ELj16EfllfffEEv20rocsparse_direction_NS_24const_host_device_scalarIT1_EET3_PKS5_PKT2_SA_S7_PKT4_S5_PKT5_S4_PT6_21rocsparse_index_base_b ; -- Begin function _ZN9rocsparseL22bsrxmvn_general_kernelILj256ELj16EfllfffEEv20rocsparse_direction_NS_24const_host_device_scalarIT1_EET3_PKS5_PKT2_SA_S7_PKT4_S5_PKT5_S4_PT6_21rocsparse_index_base_b
	.p2align	8
	.type	_ZN9rocsparseL22bsrxmvn_general_kernelILj256ELj16EfllfffEEv20rocsparse_direction_NS_24const_host_device_scalarIT1_EET3_PKS5_PKT2_SA_S7_PKT4_S5_PKT5_S4_PT6_21rocsparse_index_base_b,@function
_ZN9rocsparseL22bsrxmvn_general_kernelILj256ELj16EfllfffEEv20rocsparse_direction_NS_24const_host_device_scalarIT1_EET3_PKS5_PKT2_SA_S7_PKT4_S5_PKT5_S4_PT6_21rocsparse_index_base_b: ; @_ZN9rocsparseL22bsrxmvn_general_kernelILj256ELj16EfllfffEEv20rocsparse_direction_NS_24const_host_device_scalarIT1_EET3_PKS5_PKT2_SA_S7_PKT4_S5_PKT5_S4_PT6_21rocsparse_index_base_b
; %bb.0:
	s_clause 0x2
	s_load_b64 s[12:13], s[0:1], 0x60
	s_load_b64 s[14:15], s[0:1], 0x8
	;; [unrolled: 1-line block ×3, first 2 shown]
	s_wait_kmcnt 0x0
	s_bitcmp1_b32 s13, 0
	s_cselect_b32 s2, -1, 0
	s_delay_alu instid0(SALU_CYCLE_1)
	s_and_b32 vcc_lo, exec_lo, s2
	s_xor_b32 s2, s2, -1
	s_cbranch_vccnz .LBB25_2
; %bb.1:
	s_load_b32 s14, s[14:15], 0x0
.LBB25_2:
	s_and_not1_b32 vcc_lo, exec_lo, s2
	s_cbranch_vccnz .LBB25_4
; %bb.3:
	s_load_b32 s16, s[16:17], 0x0
.LBB25_4:
	s_wait_kmcnt 0x0
	s_cmp_neq_f32 s14, 0
	s_cselect_b32 s2, -1, 0
	s_cmp_neq_f32 s16, 1.0
	s_cselect_b32 s3, -1, 0
	s_delay_alu instid0(SALU_CYCLE_1)
	s_or_b32 s2, s2, s3
	s_mov_b32 s3, 0
	s_and_not1_b32 vcc_lo, exec_lo, s2
	s_cbranch_vccnz .LBB25_26
; %bb.5:
	s_load_b64 s[4:5], s[0:1], 0x18
	s_mov_b32 s2, ttmp9
	s_mov_b32 s13, s3
	s_wait_kmcnt 0x0
	s_cmp_eq_u64 s[4:5], 0
	s_cbranch_scc1 .LBB25_7
; %bb.6:
	s_lshl_b64 s[2:3], s[2:3], 3
	s_delay_alu instid0(SALU_CYCLE_1)
	s_add_nc_u64 s[2:3], s[4:5], s[2:3]
	s_load_b64 s[2:3], s[2:3], 0x0
	s_wait_kmcnt 0x0
	s_sub_nc_u64 s[2:3], s[2:3], s[12:13]
.LBB25_7:
	s_load_b64 s[18:19], s[0:1], 0x40
	v_lshrrev_b32_e32 v1, 4, v0
	v_mov_b32_e32 v2, 0
	s_mov_b32 s4, exec_lo
	s_wait_kmcnt 0x0
	s_delay_alu instid0(VALU_DEP_1)
	v_cmpx_gt_i64_e64 s[18:19], v[1:2]
	s_cbranch_execz .LBB25_26
; %bb.8:
	s_clause 0x2
	s_load_b256 s[4:11], s[0:1], 0x20
	s_load_b64 s[20:21], s[0:1], 0x48
	s_load_b64 s[22:23], s[0:1], 0x58
	v_dual_mov_b32 v4, v2 :: v_dual_and_b32 v3, 15, v0
	v_mbcnt_lo_u32_b32 v0, -1, 0
	s_lshl_b64 s[24:25], s[2:3], 3
	s_mul_u64 s[26:27], s[2:3], s[18:19]
	s_load_b32 s17, s[0:1], 0x0
	v_cmp_gt_u64_e64 s0, s[18:19], v[3:4]
	v_xor_b32_e32 v5, 8, v0
	v_xor_b32_e32 v6, 4, v0
	;; [unrolled: 1-line block ×4, first 2 shown]
	v_cmp_eq_u32_e64 s1, 15, v3
	v_cmp_gt_i32_e32 vcc_lo, 32, v5
	s_mov_b32 s15, 0
	v_cndmask_b32_e32 v5, v0, v5, vcc_lo
	s_wait_kmcnt 0x0
	s_add_nc_u64 s[2:3], s[4:5], s[24:25]
	v_cmp_gt_i32_e32 vcc_lo, 32, v6
	s_load_b64 s[28:29], s[2:3], 0x0
	v_lshlrev_b32_e32 v9, 2, v3
	s_add_nc_u64 s[4:5], s[6:7], s[24:25]
	s_cmp_eq_u64 s[6:7], 0
	v_cndmask_b32_e32 v6, v0, v6, vcc_lo
	v_cmp_gt_i32_e32 vcc_lo, 32, v7
	s_add_nc_u64 s[2:3], s[2:3], 8
	s_delay_alu instid0(SALU_CYCLE_1)
	s_cselect_b32 s3, s3, s5
	s_cselect_b32 s2, s2, s4
	s_wait_alu 0xfffd
	v_cndmask_b32_e32 v7, v0, v7, vcc_lo
	v_cmp_gt_i32_e32 vcc_lo, 32, v8
	v_lshlrev_b32_e32 v17, 2, v6
	s_load_b64 s[24:25], s[2:3], 0x0
	s_cmp_lg_u32 s17, 0
	v_lshlrev_b32_e32 v18, 2, v7
	v_cndmask_b32_e32 v8, v0, v8, vcc_lo
	v_lshlrev_b32_e32 v0, 2, v5
	s_cselect_b32 s3, -1, 0
	s_cmp_eq_f32 s16, 0
	s_wait_kmcnt 0x0
	s_sub_nc_u64 s[4:5], s[28:29], s[12:13]
	v_lshlrev_b32_e32 v19, 2, v8
	v_mad_co_u64_u32 v[5:6], null, s18, s4, v[1:2]
	s_mul_i32 s2, s19, s4
	s_mul_i32 s6, s18, s5
	s_cselect_b32 s17, -1, 0
	v_add3_u32 v7, s6, s2, v6
	v_mul_lo_u32 v10, s19, v5
	v_mad_co_u64_u32 v[5:6], null, s18, v5, 0
	v_cmp_lt_i64_e64 s33, s[28:29], s[24:25]
	s_delay_alu instid0(VALU_DEP_4)
	v_mul_lo_u32 v11, s18, v7
	v_add_co_u32 v7, s2, s20, v9
	s_wait_alu 0xf1ff
	v_add_co_ci_u32_e64 v8, null, s21, 0, s2
	s_lshl_b64 s[6:7], s[26:27], 2
	s_sub_nc_u64 s[20:21], s[24:25], s[12:13]
	s_wait_alu 0xfffe
	s_add_nc_u64 s[6:7], s[22:23], s[6:7]
	v_add3_u32 v6, v6, v11, v10
	s_lshl_b64 s[22:23], s[18:19], 2
	s_lshl_b64 s[24:25], s[18:19], 4
	s_mul_u64 s[26:27], s[18:19], s[18:19]
	s_branch .LBB25_10
.LBB25_9:                               ;   in Loop: Header=BB25_10 Depth=1
	s_wait_alu 0xfffe
	s_or_b32 exec_lo, exec_lo, s2
	v_add_co_u32 v1, vcc_lo, v1, 16
	s_wait_alu 0xfffd
	v_add_co_ci_u32_e64 v2, null, 0, v2, vcc_lo
	v_add_co_u32 v5, s2, v5, s24
	s_wait_alu 0xf1ff
	v_add_co_ci_u32_e64 v6, null, s25, v6, s2
	s_delay_alu instid0(VALU_DEP_3)
	v_cmp_le_i64_e32 vcc_lo, s[18:19], v[1:2]
	s_or_b32 s15, vcc_lo, s15
	s_wait_alu 0xfffe
	s_and_not1_b32 exec_lo, exec_lo, s15
	s_cbranch_execz .LBB25_26
.LBB25_10:                              ; =>This Loop Header: Depth=1
                                        ;     Child Loop BB25_14 Depth 2
                                        ;       Child Loop BB25_17 Depth 3
	v_mov_b32_e32 v20, 0
	s_and_not1_b32 vcc_lo, exec_lo, s33
	s_wait_alu 0xfffe
	s_cbranch_vccnz .LBB25_21
; %bb.11:                               ;   in Loop: Header=BB25_10 Depth=1
	s_wait_dscnt 0x0
	v_mov_b32_e32 v10, v6
	v_dual_mov_b32 v20, 0 :: v_dual_mov_b32 v9, v5
	s_mov_b64 s[28:29], s[4:5]
	s_branch .LBB25_14
.LBB25_12:                              ;   in Loop: Header=BB25_14 Depth=2
	s_or_b32 exec_lo, exec_lo, s35
.LBB25_13:                              ;   in Loop: Header=BB25_14 Depth=2
	s_delay_alu instid0(SALU_CYCLE_1)
	s_or_b32 exec_lo, exec_lo, s34
	s_wait_alu 0xfffe
	s_add_nc_u64 s[28:29], s[28:29], 1
	v_add_co_u32 v9, vcc_lo, v9, s26
	s_wait_alu 0xfffe
	v_cmp_ge_i64_e64 s2, s[28:29], s[20:21]
	s_wait_alu 0xfffd
	v_add_co_ci_u32_e64 v10, null, s27, v10, vcc_lo
	s_and_b32 vcc_lo, exec_lo, s2
	s_wait_alu 0xfffe
	s_cbranch_vccnz .LBB25_21
.LBB25_14:                              ;   Parent Loop BB25_10 Depth=1
                                        ; =>  This Loop Header: Depth=2
                                        ;       Child Loop BB25_17 Depth 3
	s_and_saveexec_b32 s34, s0
	s_cbranch_execz .LBB25_13
; %bb.15:                               ;   in Loop: Header=BB25_14 Depth=2
	s_wait_alu 0xfffe
	s_lshl_b64 s[30:31], s[28:29], 3
	v_dual_mov_b32 v14, v4 :: v_dual_mov_b32 v13, v3
	s_wait_alu 0xfffe
	s_add_nc_u64 s[30:31], s[8:9], s[30:31]
	s_mov_b32 s35, 0
	s_load_b64 s[30:31], s[30:31], 0x0
	s_wait_kmcnt 0x0
	s_sub_nc_u64 s[30:31], s[30:31], s[12:13]
	s_wait_alu 0xfffe
	v_mad_co_u64_u32 v[11:12], null, s22, s30, v[7:8]
	s_mul_i32 s2, s23, s30
	s_mul_i32 s30, s22, s31
	s_wait_alu 0xfffe
	v_add3_u32 v12, s30, s2, v12
	s_mul_u64 s[30:31], s[28:29], s[18:19]
	s_branch .LBB25_17
.LBB25_16:                              ;   in Loop: Header=BB25_17 Depth=3
	s_delay_alu instid0(VALU_DEP_1) | instskip(NEXT) | instid1(VALU_DEP_1)
	v_lshlrev_b64_e32 v[15:16], 2, v[15:16]
	v_add_co_u32 v15, vcc_lo, s10, v15
	s_wait_alu 0xfffd
	s_delay_alu instid0(VALU_DEP_2)
	v_add_co_ci_u32_e64 v16, null, s11, v16, vcc_lo
	v_add_co_u32 v13, vcc_lo, v13, 16
	global_load_b32 v21, v[11:12], off
	global_load_b32 v15, v[15:16], off
	s_wait_alu 0xfffd
	v_add_co_ci_u32_e64 v14, null, 0, v14, vcc_lo
	v_add_co_u32 v11, s2, v11, 64
	s_wait_alu 0xf1ff
	v_add_co_ci_u32_e64 v12, null, 0, v12, s2
	s_delay_alu instid0(VALU_DEP_3)
	v_cmp_le_i64_e32 vcc_lo, s[18:19], v[13:14]
	s_or_b32 s35, vcc_lo, s35
	s_wait_loadcnt 0x0
	v_fmac_f32_e32 v20, v15, v21
	s_and_not1_b32 exec_lo, exec_lo, s35
	s_cbranch_execz .LBB25_12
.LBB25_17:                              ;   Parent Loop BB25_10 Depth=1
                                        ;     Parent Loop BB25_14 Depth=2
                                        ; =>    This Inner Loop Header: Depth=3
	s_and_b32 vcc_lo, exec_lo, s3
	s_wait_alu 0xfffe
	s_cbranch_vccz .LBB25_19
; %bb.18:                               ;   in Loop: Header=BB25_17 Depth=3
	v_add_co_u32 v15, vcc_lo, v13, s30
	s_wait_alu 0xfffd
	v_add_co_ci_u32_e64 v16, null, s31, v14, vcc_lo
	s_delay_alu instid0(VALU_DEP_2) | instskip(NEXT) | instid1(VALU_DEP_2)
	v_mul_lo_u32 v21, v15, s19
	v_mul_lo_u32 v22, v16, s18
	v_mad_co_u64_u32 v[15:16], null, v15, s18, v[1:2]
	s_delay_alu instid0(VALU_DEP_1)
	v_add3_u32 v16, v22, v16, v21
	s_cbranch_execnz .LBB25_16
	s_branch .LBB25_20
.LBB25_19:                              ;   in Loop: Header=BB25_17 Depth=3
                                        ; implicit-def: $vgpr15_vgpr16
.LBB25_20:                              ;   in Loop: Header=BB25_17 Depth=3
	v_add_co_u32 v15, vcc_lo, v9, v13
	s_wait_alu 0xfffd
	v_add_co_ci_u32_e64 v16, null, v10, v14, vcc_lo
	s_branch .LBB25_16
.LBB25_21:                              ;   in Loop: Header=BB25_10 Depth=1
	ds_bpermute_b32 v9, v0, v20
	s_wait_dscnt 0x0
	v_add_f32_e32 v9, v20, v9
	ds_bpermute_b32 v10, v17, v9
	s_wait_dscnt 0x0
	v_add_f32_e32 v9, v9, v10
	;; [unrolled: 3-line block ×3, first 2 shown]
	ds_bpermute_b32 v10, v19, v9
	s_and_saveexec_b32 s2, s1
	s_cbranch_execz .LBB25_9
; %bb.22:                               ;   in Loop: Header=BB25_10 Depth=1
	s_wait_dscnt 0x0
	v_add_f32_e32 v11, v9, v10
	v_lshlrev_b64_e32 v[9:10], 2, v[1:2]
	s_and_b32 vcc_lo, exec_lo, s17
	s_delay_alu instid0(VALU_DEP_2)
	v_mul_f32_e32 v11, s14, v11
	s_wait_alu 0xfffe
	s_cbranch_vccz .LBB25_24
; %bb.23:                               ;   in Loop: Header=BB25_10 Depth=1
	s_delay_alu instid0(VALU_DEP_2)
	v_add_co_u32 v12, vcc_lo, s6, v9
	s_wait_alu 0xfffd
	v_add_co_ci_u32_e64 v13, null, s7, v10, vcc_lo
	global_store_b32 v[12:13], v11, off
	s_cbranch_execnz .LBB25_9
	s_branch .LBB25_25
.LBB25_24:                              ;   in Loop: Header=BB25_10 Depth=1
.LBB25_25:                              ;   in Loop: Header=BB25_10 Depth=1
	s_delay_alu instid0(VALU_DEP_2)
	v_add_co_u32 v9, vcc_lo, s6, v9
	s_wait_alu 0xfffd
	v_add_co_ci_u32_e64 v10, null, s7, v10, vcc_lo
	global_load_b32 v12, v[9:10], off
	s_wait_loadcnt 0x0
	v_fmac_f32_e32 v11, s16, v12
	global_store_b32 v[9:10], v11, off
	s_branch .LBB25_9
.LBB25_26:
	s_endpgm
	.section	.rodata,"a",@progbits
	.p2align	6, 0x0
	.amdhsa_kernel _ZN9rocsparseL22bsrxmvn_general_kernelILj256ELj16EfllfffEEv20rocsparse_direction_NS_24const_host_device_scalarIT1_EET3_PKS5_PKT2_SA_S7_PKT4_S5_PKT5_S4_PT6_21rocsparse_index_base_b
		.amdhsa_group_segment_fixed_size 0
		.amdhsa_private_segment_fixed_size 0
		.amdhsa_kernarg_size 104
		.amdhsa_user_sgpr_count 2
		.amdhsa_user_sgpr_dispatch_ptr 0
		.amdhsa_user_sgpr_queue_ptr 0
		.amdhsa_user_sgpr_kernarg_segment_ptr 1
		.amdhsa_user_sgpr_dispatch_id 0
		.amdhsa_user_sgpr_private_segment_size 0
		.amdhsa_wavefront_size32 1
		.amdhsa_uses_dynamic_stack 0
		.amdhsa_enable_private_segment 0
		.amdhsa_system_sgpr_workgroup_id_x 1
		.amdhsa_system_sgpr_workgroup_id_y 0
		.amdhsa_system_sgpr_workgroup_id_z 0
		.amdhsa_system_sgpr_workgroup_info 0
		.amdhsa_system_vgpr_workitem_id 0
		.amdhsa_next_free_vgpr 23
		.amdhsa_next_free_sgpr 36
		.amdhsa_reserve_vcc 1
		.amdhsa_float_round_mode_32 0
		.amdhsa_float_round_mode_16_64 0
		.amdhsa_float_denorm_mode_32 3
		.amdhsa_float_denorm_mode_16_64 3
		.amdhsa_fp16_overflow 0
		.amdhsa_workgroup_processor_mode 1
		.amdhsa_memory_ordered 1
		.amdhsa_forward_progress 1
		.amdhsa_inst_pref_size 10
		.amdhsa_round_robin_scheduling 0
		.amdhsa_exception_fp_ieee_invalid_op 0
		.amdhsa_exception_fp_denorm_src 0
		.amdhsa_exception_fp_ieee_div_zero 0
		.amdhsa_exception_fp_ieee_overflow 0
		.amdhsa_exception_fp_ieee_underflow 0
		.amdhsa_exception_fp_ieee_inexact 0
		.amdhsa_exception_int_div_zero 0
	.end_amdhsa_kernel
	.section	.text._ZN9rocsparseL22bsrxmvn_general_kernelILj256ELj16EfllfffEEv20rocsparse_direction_NS_24const_host_device_scalarIT1_EET3_PKS5_PKT2_SA_S7_PKT4_S5_PKT5_S4_PT6_21rocsparse_index_base_b,"axG",@progbits,_ZN9rocsparseL22bsrxmvn_general_kernelILj256ELj16EfllfffEEv20rocsparse_direction_NS_24const_host_device_scalarIT1_EET3_PKS5_PKT2_SA_S7_PKT4_S5_PKT5_S4_PT6_21rocsparse_index_base_b,comdat
.Lfunc_end25:
	.size	_ZN9rocsparseL22bsrxmvn_general_kernelILj256ELj16EfllfffEEv20rocsparse_direction_NS_24const_host_device_scalarIT1_EET3_PKS5_PKT2_SA_S7_PKT4_S5_PKT5_S4_PT6_21rocsparse_index_base_b, .Lfunc_end25-_ZN9rocsparseL22bsrxmvn_general_kernelILj256ELj16EfllfffEEv20rocsparse_direction_NS_24const_host_device_scalarIT1_EET3_PKS5_PKT2_SA_S7_PKT4_S5_PKT5_S4_PT6_21rocsparse_index_base_b
                                        ; -- End function
	.set _ZN9rocsparseL22bsrxmvn_general_kernelILj256ELj16EfllfffEEv20rocsparse_direction_NS_24const_host_device_scalarIT1_EET3_PKS5_PKT2_SA_S7_PKT4_S5_PKT5_S4_PT6_21rocsparse_index_base_b.num_vgpr, 23
	.set _ZN9rocsparseL22bsrxmvn_general_kernelILj256ELj16EfllfffEEv20rocsparse_direction_NS_24const_host_device_scalarIT1_EET3_PKS5_PKT2_SA_S7_PKT4_S5_PKT5_S4_PT6_21rocsparse_index_base_b.num_agpr, 0
	.set _ZN9rocsparseL22bsrxmvn_general_kernelILj256ELj16EfllfffEEv20rocsparse_direction_NS_24const_host_device_scalarIT1_EET3_PKS5_PKT2_SA_S7_PKT4_S5_PKT5_S4_PT6_21rocsparse_index_base_b.numbered_sgpr, 36
	.set _ZN9rocsparseL22bsrxmvn_general_kernelILj256ELj16EfllfffEEv20rocsparse_direction_NS_24const_host_device_scalarIT1_EET3_PKS5_PKT2_SA_S7_PKT4_S5_PKT5_S4_PT6_21rocsparse_index_base_b.num_named_barrier, 0
	.set _ZN9rocsparseL22bsrxmvn_general_kernelILj256ELj16EfllfffEEv20rocsparse_direction_NS_24const_host_device_scalarIT1_EET3_PKS5_PKT2_SA_S7_PKT4_S5_PKT5_S4_PT6_21rocsparse_index_base_b.private_seg_size, 0
	.set _ZN9rocsparseL22bsrxmvn_general_kernelILj256ELj16EfllfffEEv20rocsparse_direction_NS_24const_host_device_scalarIT1_EET3_PKS5_PKT2_SA_S7_PKT4_S5_PKT5_S4_PT6_21rocsparse_index_base_b.uses_vcc, 1
	.set _ZN9rocsparseL22bsrxmvn_general_kernelILj256ELj16EfllfffEEv20rocsparse_direction_NS_24const_host_device_scalarIT1_EET3_PKS5_PKT2_SA_S7_PKT4_S5_PKT5_S4_PT6_21rocsparse_index_base_b.uses_flat_scratch, 0
	.set _ZN9rocsparseL22bsrxmvn_general_kernelILj256ELj16EfllfffEEv20rocsparse_direction_NS_24const_host_device_scalarIT1_EET3_PKS5_PKT2_SA_S7_PKT4_S5_PKT5_S4_PT6_21rocsparse_index_base_b.has_dyn_sized_stack, 0
	.set _ZN9rocsparseL22bsrxmvn_general_kernelILj256ELj16EfllfffEEv20rocsparse_direction_NS_24const_host_device_scalarIT1_EET3_PKS5_PKT2_SA_S7_PKT4_S5_PKT5_S4_PT6_21rocsparse_index_base_b.has_recursion, 0
	.set _ZN9rocsparseL22bsrxmvn_general_kernelILj256ELj16EfllfffEEv20rocsparse_direction_NS_24const_host_device_scalarIT1_EET3_PKS5_PKT2_SA_S7_PKT4_S5_PKT5_S4_PT6_21rocsparse_index_base_b.has_indirect_call, 0
	.section	.AMDGPU.csdata,"",@progbits
; Kernel info:
; codeLenInByte = 1260
; TotalNumSgprs: 38
; NumVgprs: 23
; ScratchSize: 0
; MemoryBound: 0
; FloatMode: 240
; IeeeMode: 1
; LDSByteSize: 0 bytes/workgroup (compile time only)
; SGPRBlocks: 0
; VGPRBlocks: 2
; NumSGPRsForWavesPerEU: 38
; NumVGPRsForWavesPerEU: 23
; Occupancy: 16
; WaveLimiterHint : 0
; COMPUTE_PGM_RSRC2:SCRATCH_EN: 0
; COMPUTE_PGM_RSRC2:USER_SGPR: 2
; COMPUTE_PGM_RSRC2:TRAP_HANDLER: 0
; COMPUTE_PGM_RSRC2:TGID_X_EN: 1
; COMPUTE_PGM_RSRC2:TGID_Y_EN: 0
; COMPUTE_PGM_RSRC2:TGID_Z_EN: 0
; COMPUTE_PGM_RSRC2:TIDIG_COMP_CNT: 0
	.section	.text._ZN9rocsparseL22bsrxmvn_general_kernelILj1024ELj32EfllfffEEv20rocsparse_direction_NS_24const_host_device_scalarIT1_EET3_PKS5_PKT2_SA_S7_PKT4_S5_PKT5_S4_PT6_21rocsparse_index_base_b,"axG",@progbits,_ZN9rocsparseL22bsrxmvn_general_kernelILj1024ELj32EfllfffEEv20rocsparse_direction_NS_24const_host_device_scalarIT1_EET3_PKS5_PKT2_SA_S7_PKT4_S5_PKT5_S4_PT6_21rocsparse_index_base_b,comdat
	.globl	_ZN9rocsparseL22bsrxmvn_general_kernelILj1024ELj32EfllfffEEv20rocsparse_direction_NS_24const_host_device_scalarIT1_EET3_PKS5_PKT2_SA_S7_PKT4_S5_PKT5_S4_PT6_21rocsparse_index_base_b ; -- Begin function _ZN9rocsparseL22bsrxmvn_general_kernelILj1024ELj32EfllfffEEv20rocsparse_direction_NS_24const_host_device_scalarIT1_EET3_PKS5_PKT2_SA_S7_PKT4_S5_PKT5_S4_PT6_21rocsparse_index_base_b
	.p2align	8
	.type	_ZN9rocsparseL22bsrxmvn_general_kernelILj1024ELj32EfllfffEEv20rocsparse_direction_NS_24const_host_device_scalarIT1_EET3_PKS5_PKT2_SA_S7_PKT4_S5_PKT5_S4_PT6_21rocsparse_index_base_b,@function
_ZN9rocsparseL22bsrxmvn_general_kernelILj1024ELj32EfllfffEEv20rocsparse_direction_NS_24const_host_device_scalarIT1_EET3_PKS5_PKT2_SA_S7_PKT4_S5_PKT5_S4_PT6_21rocsparse_index_base_b: ; @_ZN9rocsparseL22bsrxmvn_general_kernelILj1024ELj32EfllfffEEv20rocsparse_direction_NS_24const_host_device_scalarIT1_EET3_PKS5_PKT2_SA_S7_PKT4_S5_PKT5_S4_PT6_21rocsparse_index_base_b
; %bb.0:
	s_clause 0x2
	s_load_b64 s[12:13], s[0:1], 0x60
	s_load_b64 s[14:15], s[0:1], 0x8
	;; [unrolled: 1-line block ×3, first 2 shown]
	s_wait_kmcnt 0x0
	s_bitcmp1_b32 s13, 0
	s_cselect_b32 s2, -1, 0
	s_delay_alu instid0(SALU_CYCLE_1)
	s_and_b32 vcc_lo, exec_lo, s2
	s_xor_b32 s2, s2, -1
	s_cbranch_vccnz .LBB26_2
; %bb.1:
	s_load_b32 s14, s[14:15], 0x0
.LBB26_2:
	s_and_not1_b32 vcc_lo, exec_lo, s2
	s_cbranch_vccnz .LBB26_4
; %bb.3:
	s_load_b32 s16, s[16:17], 0x0
.LBB26_4:
	s_wait_kmcnt 0x0
	s_cmp_neq_f32 s14, 0
	s_mov_b32 s23, 0
	s_cselect_b32 s2, -1, 0
	s_cmp_neq_f32 s16, 1.0
	s_cselect_b32 s3, -1, 0
	s_delay_alu instid0(SALU_CYCLE_1) | instskip(NEXT) | instid1(SALU_CYCLE_1)
	s_or_b32 s2, s2, s3
	s_and_not1_b32 vcc_lo, exec_lo, s2
	s_cbranch_vccnz .LBB26_26
; %bb.5:
	s_load_b64 s[2:3], s[0:1], 0x18
	s_mov_b32 s22, ttmp9
	s_mov_b32 s13, s23
	s_wait_kmcnt 0x0
	s_cmp_eq_u64 s[2:3], 0
	s_cbranch_scc1 .LBB26_7
; %bb.6:
	s_lshl_b64 s[4:5], s[22:23], 3
	s_delay_alu instid0(SALU_CYCLE_1)
	s_add_nc_u64 s[2:3], s[2:3], s[4:5]
	s_load_b64 s[2:3], s[2:3], 0x0
	s_wait_kmcnt 0x0
	s_sub_nc_u64 s[22:23], s[2:3], s[12:13]
.LBB26_7:
	s_load_b64 s[18:19], s[0:1], 0x40
	v_lshrrev_b32_e32 v1, 5, v0
	v_mov_b32_e32 v2, 0
	s_mov_b32 s2, exec_lo
	s_wait_kmcnt 0x0
	s_delay_alu instid0(VALU_DEP_1)
	v_cmpx_gt_i64_e64 s[18:19], v[1:2]
	s_cbranch_execz .LBB26_26
; %bb.8:
	s_clause 0x2
	s_load_b256 s[4:11], s[0:1], 0x20
	s_load_b64 s[2:3], s[0:1], 0x48
	s_load_b64 s[20:21], s[0:1], 0x58
	v_dual_mov_b32 v4, v2 :: v_dual_and_b32 v3, 31, v0
	v_mbcnt_lo_u32_b32 v0, -1, 0
	s_lshl_b64 s[24:25], s[22:23], 3
	s_load_b32 s17, s[0:1], 0x0
	s_mul_u64 s[22:23], s[22:23], s[18:19]
	v_cmp_gt_u64_e64 s0, s[18:19], v[3:4]
	v_xor_b32_e32 v5, 16, v0
	v_xor_b32_e32 v6, 8, v0
	;; [unrolled: 1-line block ×5, first 2 shown]
	v_cmp_gt_i32_e32 vcc_lo, 32, v5
	v_lshlrev_b32_e32 v10, 2, v3
	v_cmp_eq_u32_e64 s1, 31, v3
	s_mov_b32 s15, 0
	v_cndmask_b32_e32 v5, v0, v5, vcc_lo
	s_wait_kmcnt 0x0
	s_add_nc_u64 s[4:5], s[4:5], s[24:25]
	v_cmp_gt_i32_e32 vcc_lo, 32, v6
	s_load_b64 s[26:27], s[4:5], 0x0
	s_add_nc_u64 s[24:25], s[6:7], s[24:25]
	s_cmp_eq_u64 s[6:7], 0
	s_add_nc_u64 s[4:5], s[4:5], 8
	v_cndmask_b32_e32 v6, v0, v6, vcc_lo
	v_cmp_gt_i32_e32 vcc_lo, 32, v7
	s_cselect_b32 s5, s5, s25
	s_cselect_b32 s4, s4, s24
	s_cmp_lg_u32 s17, 0
	s_load_b64 s[24:25], s[4:5], 0x0
	v_cndmask_b32_e32 v7, v0, v7, vcc_lo
	v_cmp_gt_i32_e32 vcc_lo, 32, v8
	s_cselect_b32 s17, -1, 0
	s_cmp_eq_f32 s16, 0
	s_wait_alu 0xfffd
	v_cndmask_b32_e32 v8, v0, v8, vcc_lo
	v_cmp_gt_i32_e32 vcc_lo, 32, v9
	s_cselect_b32 s33, -1, 0
	s_wait_kmcnt 0x0
	s_sub_nc_u64 s[4:5], s[26:27], s[12:13]
	v_lshlrev_b32_e32 v19, 2, v8
	s_wait_alu 0xfffd
	v_cndmask_b32_e32 v9, v0, v9, vcc_lo
	v_lshlrev_b32_e32 v0, 2, v5
	v_lshlrev_b32_e32 v17, 2, v6
	v_mad_co_u64_u32 v[5:6], null, s18, s4, v[1:2]
	s_mul_i32 s6, s19, s4
	s_mul_i32 s7, s18, s5
	v_lshlrev_b32_e32 v18, 2, v7
	v_lshlrev_b32_e32 v20, 2, v9
	v_add3_u32 v7, s7, s6, v6
	v_mul_lo_u32 v9, s19, v5
	v_mad_co_u64_u32 v[5:6], null, s18, v5, 0
	s_lshl_b64 s[6:7], s[22:23], 2
	v_mul_lo_u32 v11, s18, v7
	v_add_co_u32 v7, s2, s2, v10
	s_wait_alu 0xf1ff
	v_add_co_ci_u32_e64 v8, null, s3, 0, s2
	v_cmp_lt_i64_e64 s3, s[26:27], s[24:25]
	s_wait_alu 0xfffe
	s_add_nc_u64 s[6:7], s[20:21], s[6:7]
	s_sub_nc_u64 s[20:21], s[24:25], s[12:13]
	v_add3_u32 v6, v6, v11, v9
	s_lshl_b64 s[22:23], s[18:19], 2
	s_lshl_b64 s[24:25], s[18:19], 5
	s_mul_u64 s[26:27], s[18:19], s[18:19]
	s_branch .LBB26_10
.LBB26_9:                               ;   in Loop: Header=BB26_10 Depth=1
	s_wait_alu 0xfffe
	s_or_b32 exec_lo, exec_lo, s2
	v_add_co_u32 v1, vcc_lo, v1, 32
	s_wait_alu 0xfffd
	v_add_co_ci_u32_e64 v2, null, 0, v2, vcc_lo
	v_add_co_u32 v5, s2, v5, s24
	s_wait_alu 0xf1ff
	v_add_co_ci_u32_e64 v6, null, s25, v6, s2
	s_delay_alu instid0(VALU_DEP_3)
	v_cmp_le_i64_e32 vcc_lo, s[18:19], v[1:2]
	s_or_b32 s15, vcc_lo, s15
	s_wait_alu 0xfffe
	s_and_not1_b32 exec_lo, exec_lo, s15
	s_cbranch_execz .LBB26_26
.LBB26_10:                              ; =>This Loop Header: Depth=1
                                        ;     Child Loop BB26_14 Depth 2
                                        ;       Child Loop BB26_17 Depth 3
	v_mov_b32_e32 v21, 0
	s_and_not1_b32 vcc_lo, exec_lo, s3
	s_wait_alu 0xfffe
	s_cbranch_vccnz .LBB26_21
; %bb.11:                               ;   in Loop: Header=BB26_10 Depth=1
	s_wait_dscnt 0x0
	v_dual_mov_b32 v21, 0 :: v_dual_mov_b32 v10, v6
	v_mov_b32_e32 v9, v5
	s_mov_b64 s[28:29], s[4:5]
	s_branch .LBB26_14
.LBB26_12:                              ;   in Loop: Header=BB26_14 Depth=2
	s_or_b32 exec_lo, exec_lo, s35
.LBB26_13:                              ;   in Loop: Header=BB26_14 Depth=2
	s_delay_alu instid0(SALU_CYCLE_1)
	s_or_b32 exec_lo, exec_lo, s34
	s_wait_alu 0xfffe
	s_add_nc_u64 s[28:29], s[28:29], 1
	v_add_co_u32 v9, vcc_lo, v9, s26
	s_wait_alu 0xfffe
	v_cmp_ge_i64_e64 s2, s[28:29], s[20:21]
	s_wait_alu 0xfffd
	v_add_co_ci_u32_e64 v10, null, s27, v10, vcc_lo
	s_and_b32 vcc_lo, exec_lo, s2
	s_wait_alu 0xfffe
	s_cbranch_vccnz .LBB26_21
.LBB26_14:                              ;   Parent Loop BB26_10 Depth=1
                                        ; =>  This Loop Header: Depth=2
                                        ;       Child Loop BB26_17 Depth 3
	s_and_saveexec_b32 s34, s0
	s_cbranch_execz .LBB26_13
; %bb.15:                               ;   in Loop: Header=BB26_14 Depth=2
	s_wait_alu 0xfffe
	s_lshl_b64 s[30:31], s[28:29], 3
	v_dual_mov_b32 v14, v4 :: v_dual_mov_b32 v13, v3
	s_wait_alu 0xfffe
	s_add_nc_u64 s[30:31], s[8:9], s[30:31]
	s_mov_b32 s35, 0
	s_load_b64 s[30:31], s[30:31], 0x0
	s_wait_kmcnt 0x0
	s_sub_nc_u64 s[30:31], s[30:31], s[12:13]
	s_wait_alu 0xfffe
	v_mad_co_u64_u32 v[11:12], null, s22, s30, v[7:8]
	s_mul_i32 s2, s23, s30
	s_mul_i32 s30, s22, s31
	s_wait_alu 0xfffe
	v_add3_u32 v12, s30, s2, v12
	s_mul_u64 s[30:31], s[28:29], s[18:19]
	s_branch .LBB26_17
.LBB26_16:                              ;   in Loop: Header=BB26_17 Depth=3
	s_delay_alu instid0(VALU_DEP_1) | instskip(NEXT) | instid1(VALU_DEP_1)
	v_lshlrev_b64_e32 v[15:16], 2, v[15:16]
	v_add_co_u32 v15, vcc_lo, s10, v15
	s_wait_alu 0xfffd
	s_delay_alu instid0(VALU_DEP_2)
	v_add_co_ci_u32_e64 v16, null, s11, v16, vcc_lo
	v_add_co_u32 v13, vcc_lo, v13, 32
	global_load_b32 v22, v[11:12], off
	global_load_b32 v15, v[15:16], off
	s_wait_alu 0xfffd
	v_add_co_ci_u32_e64 v14, null, 0, v14, vcc_lo
	v_add_co_u32 v11, s2, 0x80, v11
	s_wait_alu 0xf1ff
	v_add_co_ci_u32_e64 v12, null, 0, v12, s2
	s_delay_alu instid0(VALU_DEP_3)
	v_cmp_le_i64_e32 vcc_lo, s[18:19], v[13:14]
	s_or_b32 s35, vcc_lo, s35
	s_wait_loadcnt 0x0
	v_fmac_f32_e32 v21, v15, v22
	s_and_not1_b32 exec_lo, exec_lo, s35
	s_cbranch_execz .LBB26_12
.LBB26_17:                              ;   Parent Loop BB26_10 Depth=1
                                        ;     Parent Loop BB26_14 Depth=2
                                        ; =>    This Inner Loop Header: Depth=3
	s_and_b32 vcc_lo, exec_lo, s17
	s_wait_alu 0xfffe
	s_cbranch_vccz .LBB26_19
; %bb.18:                               ;   in Loop: Header=BB26_17 Depth=3
	v_add_co_u32 v15, vcc_lo, v13, s30
	s_wait_alu 0xfffd
	v_add_co_ci_u32_e64 v16, null, s31, v14, vcc_lo
	s_delay_alu instid0(VALU_DEP_2) | instskip(NEXT) | instid1(VALU_DEP_2)
	v_mul_lo_u32 v22, v15, s19
	v_mul_lo_u32 v23, v16, s18
	v_mad_co_u64_u32 v[15:16], null, v15, s18, v[1:2]
	s_delay_alu instid0(VALU_DEP_1)
	v_add3_u32 v16, v23, v16, v22
	s_cbranch_execnz .LBB26_16
	s_branch .LBB26_20
.LBB26_19:                              ;   in Loop: Header=BB26_17 Depth=3
                                        ; implicit-def: $vgpr15_vgpr16
.LBB26_20:                              ;   in Loop: Header=BB26_17 Depth=3
	v_add_co_u32 v15, vcc_lo, v9, v13
	s_wait_alu 0xfffd
	v_add_co_ci_u32_e64 v16, null, v10, v14, vcc_lo
	s_branch .LBB26_16
.LBB26_21:                              ;   in Loop: Header=BB26_10 Depth=1
	ds_bpermute_b32 v9, v0, v21
	s_wait_dscnt 0x0
	v_add_f32_e32 v9, v21, v9
	ds_bpermute_b32 v10, v17, v9
	s_wait_dscnt 0x0
	v_add_f32_e32 v9, v9, v10
	;; [unrolled: 3-line block ×4, first 2 shown]
	ds_bpermute_b32 v10, v20, v9
	s_and_saveexec_b32 s2, s1
	s_cbranch_execz .LBB26_9
; %bb.22:                               ;   in Loop: Header=BB26_10 Depth=1
	s_wait_dscnt 0x0
	v_add_f32_e32 v11, v9, v10
	v_lshlrev_b64_e32 v[9:10], 2, v[1:2]
	s_and_b32 vcc_lo, exec_lo, s33
	s_delay_alu instid0(VALU_DEP_2)
	v_mul_f32_e32 v11, s14, v11
	s_wait_alu 0xfffe
	s_cbranch_vccz .LBB26_24
; %bb.23:                               ;   in Loop: Header=BB26_10 Depth=1
	s_delay_alu instid0(VALU_DEP_2)
	v_add_co_u32 v12, vcc_lo, s6, v9
	s_wait_alu 0xfffd
	v_add_co_ci_u32_e64 v13, null, s7, v10, vcc_lo
	global_store_b32 v[12:13], v11, off
	s_cbranch_execnz .LBB26_9
	s_branch .LBB26_25
.LBB26_24:                              ;   in Loop: Header=BB26_10 Depth=1
.LBB26_25:                              ;   in Loop: Header=BB26_10 Depth=1
	s_delay_alu instid0(VALU_DEP_2)
	v_add_co_u32 v9, vcc_lo, s6, v9
	s_wait_alu 0xfffd
	v_add_co_ci_u32_e64 v10, null, s7, v10, vcc_lo
	global_load_b32 v12, v[9:10], off
	s_wait_loadcnt 0x0
	v_fmac_f32_e32 v11, s16, v12
	global_store_b32 v[9:10], v11, off
	s_branch .LBB26_9
.LBB26_26:
	s_endpgm
	.section	.rodata,"a",@progbits
	.p2align	6, 0x0
	.amdhsa_kernel _ZN9rocsparseL22bsrxmvn_general_kernelILj1024ELj32EfllfffEEv20rocsparse_direction_NS_24const_host_device_scalarIT1_EET3_PKS5_PKT2_SA_S7_PKT4_S5_PKT5_S4_PT6_21rocsparse_index_base_b
		.amdhsa_group_segment_fixed_size 0
		.amdhsa_private_segment_fixed_size 0
		.amdhsa_kernarg_size 104
		.amdhsa_user_sgpr_count 2
		.amdhsa_user_sgpr_dispatch_ptr 0
		.amdhsa_user_sgpr_queue_ptr 0
		.amdhsa_user_sgpr_kernarg_segment_ptr 1
		.amdhsa_user_sgpr_dispatch_id 0
		.amdhsa_user_sgpr_private_segment_size 0
		.amdhsa_wavefront_size32 1
		.amdhsa_uses_dynamic_stack 0
		.amdhsa_enable_private_segment 0
		.amdhsa_system_sgpr_workgroup_id_x 1
		.amdhsa_system_sgpr_workgroup_id_y 0
		.amdhsa_system_sgpr_workgroup_id_z 0
		.amdhsa_system_sgpr_workgroup_info 0
		.amdhsa_system_vgpr_workitem_id 0
		.amdhsa_next_free_vgpr 24
		.amdhsa_next_free_sgpr 36
		.amdhsa_reserve_vcc 1
		.amdhsa_float_round_mode_32 0
		.amdhsa_float_round_mode_16_64 0
		.amdhsa_float_denorm_mode_32 3
		.amdhsa_float_denorm_mode_16_64 3
		.amdhsa_fp16_overflow 0
		.amdhsa_workgroup_processor_mode 1
		.amdhsa_memory_ordered 1
		.amdhsa_forward_progress 1
		.amdhsa_inst_pref_size 11
		.amdhsa_round_robin_scheduling 0
		.amdhsa_exception_fp_ieee_invalid_op 0
		.amdhsa_exception_fp_denorm_src 0
		.amdhsa_exception_fp_ieee_div_zero 0
		.amdhsa_exception_fp_ieee_overflow 0
		.amdhsa_exception_fp_ieee_underflow 0
		.amdhsa_exception_fp_ieee_inexact 0
		.amdhsa_exception_int_div_zero 0
	.end_amdhsa_kernel
	.section	.text._ZN9rocsparseL22bsrxmvn_general_kernelILj1024ELj32EfllfffEEv20rocsparse_direction_NS_24const_host_device_scalarIT1_EET3_PKS5_PKT2_SA_S7_PKT4_S5_PKT5_S4_PT6_21rocsparse_index_base_b,"axG",@progbits,_ZN9rocsparseL22bsrxmvn_general_kernelILj1024ELj32EfllfffEEv20rocsparse_direction_NS_24const_host_device_scalarIT1_EET3_PKS5_PKT2_SA_S7_PKT4_S5_PKT5_S4_PT6_21rocsparse_index_base_b,comdat
.Lfunc_end26:
	.size	_ZN9rocsparseL22bsrxmvn_general_kernelILj1024ELj32EfllfffEEv20rocsparse_direction_NS_24const_host_device_scalarIT1_EET3_PKS5_PKT2_SA_S7_PKT4_S5_PKT5_S4_PT6_21rocsparse_index_base_b, .Lfunc_end26-_ZN9rocsparseL22bsrxmvn_general_kernelILj1024ELj32EfllfffEEv20rocsparse_direction_NS_24const_host_device_scalarIT1_EET3_PKS5_PKT2_SA_S7_PKT4_S5_PKT5_S4_PT6_21rocsparse_index_base_b
                                        ; -- End function
	.set _ZN9rocsparseL22bsrxmvn_general_kernelILj1024ELj32EfllfffEEv20rocsparse_direction_NS_24const_host_device_scalarIT1_EET3_PKS5_PKT2_SA_S7_PKT4_S5_PKT5_S4_PT6_21rocsparse_index_base_b.num_vgpr, 24
	.set _ZN9rocsparseL22bsrxmvn_general_kernelILj1024ELj32EfllfffEEv20rocsparse_direction_NS_24const_host_device_scalarIT1_EET3_PKS5_PKT2_SA_S7_PKT4_S5_PKT5_S4_PT6_21rocsparse_index_base_b.num_agpr, 0
	.set _ZN9rocsparseL22bsrxmvn_general_kernelILj1024ELj32EfllfffEEv20rocsparse_direction_NS_24const_host_device_scalarIT1_EET3_PKS5_PKT2_SA_S7_PKT4_S5_PKT5_S4_PT6_21rocsparse_index_base_b.numbered_sgpr, 36
	.set _ZN9rocsparseL22bsrxmvn_general_kernelILj1024ELj32EfllfffEEv20rocsparse_direction_NS_24const_host_device_scalarIT1_EET3_PKS5_PKT2_SA_S7_PKT4_S5_PKT5_S4_PT6_21rocsparse_index_base_b.num_named_barrier, 0
	.set _ZN9rocsparseL22bsrxmvn_general_kernelILj1024ELj32EfllfffEEv20rocsparse_direction_NS_24const_host_device_scalarIT1_EET3_PKS5_PKT2_SA_S7_PKT4_S5_PKT5_S4_PT6_21rocsparse_index_base_b.private_seg_size, 0
	.set _ZN9rocsparseL22bsrxmvn_general_kernelILj1024ELj32EfllfffEEv20rocsparse_direction_NS_24const_host_device_scalarIT1_EET3_PKS5_PKT2_SA_S7_PKT4_S5_PKT5_S4_PT6_21rocsparse_index_base_b.uses_vcc, 1
	.set _ZN9rocsparseL22bsrxmvn_general_kernelILj1024ELj32EfllfffEEv20rocsparse_direction_NS_24const_host_device_scalarIT1_EET3_PKS5_PKT2_SA_S7_PKT4_S5_PKT5_S4_PT6_21rocsparse_index_base_b.uses_flat_scratch, 0
	.set _ZN9rocsparseL22bsrxmvn_general_kernelILj1024ELj32EfllfffEEv20rocsparse_direction_NS_24const_host_device_scalarIT1_EET3_PKS5_PKT2_SA_S7_PKT4_S5_PKT5_S4_PT6_21rocsparse_index_base_b.has_dyn_sized_stack, 0
	.set _ZN9rocsparseL22bsrxmvn_general_kernelILj1024ELj32EfllfffEEv20rocsparse_direction_NS_24const_host_device_scalarIT1_EET3_PKS5_PKT2_SA_S7_PKT4_S5_PKT5_S4_PT6_21rocsparse_index_base_b.has_recursion, 0
	.set _ZN9rocsparseL22bsrxmvn_general_kernelILj1024ELj32EfllfffEEv20rocsparse_direction_NS_24const_host_device_scalarIT1_EET3_PKS5_PKT2_SA_S7_PKT4_S5_PKT5_S4_PT6_21rocsparse_index_base_b.has_indirect_call, 0
	.section	.AMDGPU.csdata,"",@progbits
; Kernel info:
; codeLenInByte = 1292
; TotalNumSgprs: 38
; NumVgprs: 24
; ScratchSize: 0
; MemoryBound: 0
; FloatMode: 240
; IeeeMode: 1
; LDSByteSize: 0 bytes/workgroup (compile time only)
; SGPRBlocks: 0
; VGPRBlocks: 2
; NumSGPRsForWavesPerEU: 38
; NumVGPRsForWavesPerEU: 24
; Occupancy: 16
; WaveLimiterHint : 0
; COMPUTE_PGM_RSRC2:SCRATCH_EN: 0
; COMPUTE_PGM_RSRC2:USER_SGPR: 2
; COMPUTE_PGM_RSRC2:TRAP_HANDLER: 0
; COMPUTE_PGM_RSRC2:TGID_X_EN: 1
; COMPUTE_PGM_RSRC2:TGID_Y_EN: 0
; COMPUTE_PGM_RSRC2:TGID_Z_EN: 0
; COMPUTE_PGM_RSRC2:TIDIG_COMP_CNT: 0
	.section	.text._ZN9rocsparseL22bsrxmvn_general_kernelILj64ELj8EdlldddEEv20rocsparse_direction_NS_24const_host_device_scalarIT1_EET3_PKS5_PKT2_SA_S7_PKT4_S5_PKT5_S4_PT6_21rocsparse_index_base_b,"axG",@progbits,_ZN9rocsparseL22bsrxmvn_general_kernelILj64ELj8EdlldddEEv20rocsparse_direction_NS_24const_host_device_scalarIT1_EET3_PKS5_PKT2_SA_S7_PKT4_S5_PKT5_S4_PT6_21rocsparse_index_base_b,comdat
	.globl	_ZN9rocsparseL22bsrxmvn_general_kernelILj64ELj8EdlldddEEv20rocsparse_direction_NS_24const_host_device_scalarIT1_EET3_PKS5_PKT2_SA_S7_PKT4_S5_PKT5_S4_PT6_21rocsparse_index_base_b ; -- Begin function _ZN9rocsparseL22bsrxmvn_general_kernelILj64ELj8EdlldddEEv20rocsparse_direction_NS_24const_host_device_scalarIT1_EET3_PKS5_PKT2_SA_S7_PKT4_S5_PKT5_S4_PT6_21rocsparse_index_base_b
	.p2align	8
	.type	_ZN9rocsparseL22bsrxmvn_general_kernelILj64ELj8EdlldddEEv20rocsparse_direction_NS_24const_host_device_scalarIT1_EET3_PKS5_PKT2_SA_S7_PKT4_S5_PKT5_S4_PT6_21rocsparse_index_base_b,@function
_ZN9rocsparseL22bsrxmvn_general_kernelILj64ELj8EdlldddEEv20rocsparse_direction_NS_24const_host_device_scalarIT1_EET3_PKS5_PKT2_SA_S7_PKT4_S5_PKT5_S4_PT6_21rocsparse_index_base_b: ; @_ZN9rocsparseL22bsrxmvn_general_kernelILj64ELj8EdlldddEEv20rocsparse_direction_NS_24const_host_device_scalarIT1_EET3_PKS5_PKT2_SA_S7_PKT4_S5_PKT5_S4_PT6_21rocsparse_index_base_b
; %bb.0:
	s_clause 0x2
	s_load_b64 s[12:13], s[0:1], 0x60
	s_load_b64 s[4:5], s[0:1], 0x8
	s_load_b64 s[2:3], s[0:1], 0x50
	s_wait_kmcnt 0x0
	s_bitcmp1_b32 s13, 0
	v_dual_mov_b32 v1, s4 :: v_dual_mov_b32 v2, s5
	s_cselect_b32 s6, -1, 0
	s_delay_alu instid0(SALU_CYCLE_1)
	s_and_b32 vcc_lo, exec_lo, s6
	s_xor_b32 s6, s6, -1
	s_cbranch_vccnz .LBB27_2
; %bb.1:
	v_dual_mov_b32 v1, s4 :: v_dual_mov_b32 v2, s5
	flat_load_b64 v[1:2], v[1:2]
.LBB27_2:
	v_dual_mov_b32 v4, s3 :: v_dual_mov_b32 v3, s2
	s_and_not1_b32 vcc_lo, exec_lo, s6
	s_cbranch_vccnz .LBB27_4
; %bb.3:
	v_dual_mov_b32 v4, s3 :: v_dual_mov_b32 v3, s2
	flat_load_b64 v[3:4], v[3:4]
.LBB27_4:
	s_wait_loadcnt_dscnt 0x0
	v_cmp_neq_f64_e32 vcc_lo, 0, v[1:2]
	v_cmp_neq_f64_e64 s2, 1.0, v[3:4]
	s_or_b32 s2, vcc_lo, s2
	s_wait_alu 0xfffe
	s_and_saveexec_b32 s3, s2
	s_cbranch_execz .LBB27_26
; %bb.5:
	s_load_b64 s[4:5], s[0:1], 0x18
	s_mov_b32 s3, 0
	s_mov_b32 s2, ttmp9
	s_wait_alu 0xfffe
	s_mov_b32 s13, s3
	s_wait_kmcnt 0x0
	s_cmp_eq_u64 s[4:5], 0
	s_cbranch_scc1 .LBB27_7
; %bb.6:
	s_lshl_b64 s[2:3], s[2:3], 3
	s_wait_alu 0xfffe
	s_add_nc_u64 s[2:3], s[4:5], s[2:3]
	s_load_b64 s[2:3], s[2:3], 0x0
	s_wait_kmcnt 0x0
	s_sub_nc_u64 s[2:3], s[2:3], s[12:13]
.LBB27_7:
	s_load_b64 s[14:15], s[0:1], 0x40
	v_lshrrev_b32_e32 v5, 3, v0
	v_mov_b32_e32 v6, 0
	s_wait_kmcnt 0x0
	s_delay_alu instid0(VALU_DEP_1)
	v_cmp_gt_i64_e32 vcc_lo, s[14:15], v[5:6]
	s_and_b32 exec_lo, exec_lo, vcc_lo
	s_cbranch_execz .LBB27_26
; %bb.8:
	s_clause 0x2
	s_load_b256 s[4:11], s[0:1], 0x20
	s_load_b64 s[16:17], s[0:1], 0x48
	s_load_b64 s[18:19], s[0:1], 0x58
	s_lshl_b64 s[20:21], s[2:3], 3
	v_dual_mov_b32 v8, v6 :: v_dual_and_b32 v7, 7, v0
	v_mbcnt_lo_u32_b32 v0, -1, 0
	s_load_b32 s27, s[0:1], 0x0
	v_cmp_eq_f64_e64 s0, 0, v[3:4]
	s_mul_u64 s[24:25], s[2:3], s[14:15]
	v_cmp_gt_u64_e64 s1, s[14:15], v[7:8]
	v_xor_b32_e32 v9, 4, v0
	v_xor_b32_e32 v10, 2, v0
	;; [unrolled: 1-line block ×3, first 2 shown]
	v_cmp_eq_u32_e64 s2, 7, v7
	s_mov_b32 s26, 0
	v_cmp_gt_i32_e32 vcc_lo, 32, v9
	v_lshlrev_b32_e32 v12, 3, v7
	s_wait_kmcnt 0x0
	s_add_nc_u64 s[4:5], s[4:5], s[20:21]
	v_cndmask_b32_e32 v13, v0, v9, vcc_lo
	s_load_b64 s[22:23], s[4:5], 0x0
	v_cmp_gt_i32_e32 vcc_lo, 32, v10
	s_add_nc_u64 s[20:21], s[6:7], s[20:21]
	s_cmp_eq_u64 s[6:7], 0
	s_add_nc_u64 s[4:5], s[4:5], 8
	s_wait_alu 0xfffe
	s_cselect_b32 s5, s5, s21
	s_cselect_b32 s4, s4, s20
	s_wait_alu 0xfffd
	v_cndmask_b32_e32 v14, v0, v10, vcc_lo
	s_load_b64 s[20:21], s[4:5], 0x0
	v_cmp_gt_i32_e32 vcc_lo, 32, v11
	s_cmp_lg_u32 s27, 0
	s_delay_alu instid0(VALU_DEP_2) | instskip(SKIP_3) | instid1(VALU_DEP_1)
	v_lshlrev_b32_e32 v23, 2, v14
	s_cselect_b32 s27, -1, 0
	s_wait_alu 0xfffd
	v_dual_cndmask_b32 v11, v0, v11 :: v_dual_lshlrev_b32 v0, 2, v13
	v_lshlrev_b32_e32 v24, 2, v11
	s_wait_kmcnt 0x0
	s_sub_nc_u64 s[4:5], s[22:23], s[12:13]
	s_wait_alu 0xfffe
	v_mad_co_u64_u32 v[9:10], null, s14, s4, v[5:6]
	s_mul_i32 s3, s15, s4
	s_mul_i32 s6, s14, s5
	v_cmp_lt_i64_e64 s28, s[22:23], s[20:21]
	s_wait_alu 0xfffe
	v_add3_u32 v11, s6, s3, v10
	v_mul_lo_u32 v13, s15, v9
	v_mad_co_u64_u32 v[9:10], null, s14, v9, 0
	s_sub_nc_u64 s[6:7], s[20:21], s[12:13]
	v_mul_lo_u32 v14, s14, v11
	v_add_co_u32 v11, s3, s16, v12
	s_wait_alu 0xf1ff
	v_add_co_ci_u32_e64 v12, null, s17, 0, s3
	s_lshl_b64 s[16:17], s[24:25], 3
	s_mul_u64 s[20:21], s[14:15], s[14:15]
	s_wait_alu 0xfffe
	s_add_nc_u64 s[16:17], s[18:19], s[16:17]
	v_add3_u32 v10, v10, v14, v13
	s_lshl_b64 s[18:19], s[14:15], 3
	s_branch .LBB27_10
.LBB27_9:                               ;   in Loop: Header=BB27_10 Depth=1
	s_wait_alu 0xfffe
	s_or_b32 exec_lo, exec_lo, s3
	v_add_co_u32 v5, vcc_lo, v5, 8
	s_wait_alu 0xfffd
	v_add_co_ci_u32_e64 v6, null, 0, v6, vcc_lo
	v_add_co_u32 v9, s3, v9, s18
	s_wait_alu 0xf1ff
	v_add_co_ci_u32_e64 v10, null, s19, v10, s3
	s_delay_alu instid0(VALU_DEP_3) | instskip(SKIP_1) | instid1(SALU_CYCLE_1)
	v_cmp_le_i64_e32 vcc_lo, s[14:15], v[5:6]
	s_or_b32 s26, vcc_lo, s26
	s_and_not1_b32 exec_lo, exec_lo, s26
	s_cbranch_execz .LBB27_26
.LBB27_10:                              ; =>This Loop Header: Depth=1
                                        ;     Child Loop BB27_14 Depth 2
                                        ;       Child Loop BB27_17 Depth 3
	v_mov_b32_e32 v13, 0
	v_mov_b32_e32 v14, 0
	s_and_not1_b32 vcc_lo, exec_lo, s28
	s_wait_alu 0xfffe
	s_cbranch_vccnz .LBB27_21
; %bb.11:                               ;   in Loop: Header=BB27_10 Depth=1
	s_wait_dscnt 0x0
	v_dual_mov_b32 v13, 0 :: v_dual_mov_b32 v16, v10
	v_dual_mov_b32 v14, 0 :: v_dual_mov_b32 v15, v9
	s_mov_b64 s[22:23], s[4:5]
	s_branch .LBB27_14
.LBB27_12:                              ;   in Loop: Header=BB27_14 Depth=2
	s_or_b32 exec_lo, exec_lo, s30
.LBB27_13:                              ;   in Loop: Header=BB27_14 Depth=2
	s_delay_alu instid0(SALU_CYCLE_1)
	s_or_b32 exec_lo, exec_lo, s29
	s_wait_alu 0xfffe
	s_add_nc_u64 s[22:23], s[22:23], 1
	v_add_co_u32 v15, vcc_lo, v15, s20
	s_wait_alu 0xfffe
	v_cmp_ge_i64_e64 s3, s[22:23], s[6:7]
	s_wait_alu 0xfffd
	v_add_co_ci_u32_e64 v16, null, s21, v16, vcc_lo
	s_and_b32 vcc_lo, exec_lo, s3
	s_wait_alu 0xfffe
	s_cbranch_vccnz .LBB27_21
.LBB27_14:                              ;   Parent Loop BB27_10 Depth=1
                                        ; =>  This Loop Header: Depth=2
                                        ;       Child Loop BB27_17 Depth 3
	s_and_saveexec_b32 s29, s1
	s_cbranch_execz .LBB27_13
; %bb.15:                               ;   in Loop: Header=BB27_14 Depth=2
	s_wait_alu 0xfffe
	s_lshl_b64 s[24:25], s[22:23], 3
	v_dual_mov_b32 v20, v8 :: v_dual_mov_b32 v19, v7
	s_wait_alu 0xfffe
	s_add_nc_u64 s[24:25], s[8:9], s[24:25]
	s_mov_b32 s30, 0
	s_load_b64 s[24:25], s[24:25], 0x0
	s_wait_kmcnt 0x0
	s_sub_nc_u64 s[24:25], s[24:25], s[12:13]
	s_wait_alu 0xfffe
	v_mad_co_u64_u32 v[17:18], null, s18, s24, v[11:12]
	s_mul_i32 s3, s19, s24
	s_mul_i32 s24, s18, s25
	s_wait_alu 0xfffe
	v_add3_u32 v18, s24, s3, v18
	s_mul_u64 s[24:25], s[22:23], s[14:15]
	s_branch .LBB27_17
.LBB27_16:                              ;   in Loop: Header=BB27_17 Depth=3
	s_delay_alu instid0(VALU_DEP_1) | instskip(NEXT) | instid1(VALU_DEP_1)
	v_lshlrev_b64_e32 v[21:22], 3, v[21:22]
	v_add_co_u32 v21, vcc_lo, s10, v21
	s_wait_alu 0xfffd
	s_delay_alu instid0(VALU_DEP_2)
	v_add_co_ci_u32_e64 v22, null, s11, v22, vcc_lo
	v_add_co_u32 v19, vcc_lo, v19, 8
	s_wait_alu 0xfffd
	v_add_co_ci_u32_e64 v20, null, 0, v20, vcc_lo
	global_load_b64 v[21:22], v[21:22], off
	global_load_b64 v[25:26], v[17:18], off
	v_add_co_u32 v17, s3, v17, 64
	v_cmp_le_i64_e32 vcc_lo, s[14:15], v[19:20]
	s_wait_alu 0xf1ff
	v_add_co_ci_u32_e64 v18, null, 0, v18, s3
	s_or_b32 s30, vcc_lo, s30
	s_wait_loadcnt 0x0
	v_fma_f64 v[13:14], v[21:22], v[25:26], v[13:14]
	s_and_not1_b32 exec_lo, exec_lo, s30
	s_cbranch_execz .LBB27_12
.LBB27_17:                              ;   Parent Loop BB27_10 Depth=1
                                        ;     Parent Loop BB27_14 Depth=2
                                        ; =>    This Inner Loop Header: Depth=3
	s_and_b32 vcc_lo, exec_lo, s27
	s_wait_alu 0xfffe
	s_cbranch_vccz .LBB27_19
; %bb.18:                               ;   in Loop: Header=BB27_17 Depth=3
	v_add_co_u32 v21, vcc_lo, v19, s24
	s_wait_alu 0xfffd
	v_add_co_ci_u32_e64 v22, null, s25, v20, vcc_lo
	s_delay_alu instid0(VALU_DEP_2) | instskip(NEXT) | instid1(VALU_DEP_2)
	v_mul_lo_u32 v25, v21, s15
	v_mul_lo_u32 v26, v22, s14
	v_mad_co_u64_u32 v[21:22], null, v21, s14, v[5:6]
	s_delay_alu instid0(VALU_DEP_1)
	v_add3_u32 v22, v26, v22, v25
	s_cbranch_execnz .LBB27_16
	s_branch .LBB27_20
.LBB27_19:                              ;   in Loop: Header=BB27_17 Depth=3
                                        ; implicit-def: $vgpr21_vgpr22
.LBB27_20:                              ;   in Loop: Header=BB27_17 Depth=3
	v_add_co_u32 v21, vcc_lo, v15, v19
	s_wait_alu 0xfffd
	v_add_co_ci_u32_e64 v22, null, v16, v20, vcc_lo
	s_branch .LBB27_16
.LBB27_21:                              ;   in Loop: Header=BB27_10 Depth=1
	s_wait_dscnt 0x1
	ds_bpermute_b32 v15, v0, v13
	s_wait_dscnt 0x1
	ds_bpermute_b32 v16, v0, v14
	s_wait_dscnt 0x0
	v_add_f64_e32 v[13:14], v[13:14], v[15:16]
	ds_bpermute_b32 v15, v23, v13
	ds_bpermute_b32 v16, v23, v14
	s_wait_dscnt 0x0
	v_add_f64_e32 v[13:14], v[13:14], v[15:16]
	ds_bpermute_b32 v15, v24, v13
	ds_bpermute_b32 v16, v24, v14
	s_and_saveexec_b32 s3, s2
	s_cbranch_execz .LBB27_9
; %bb.22:                               ;   in Loop: Header=BB27_10 Depth=1
	s_wait_dscnt 0x0
	v_add_f64_e32 v[13:14], v[13:14], v[15:16]
	v_lshlrev_b64_e32 v[15:16], 3, v[5:6]
	s_delay_alu instid0(VALU_DEP_2)
	v_mul_f64_e32 v[13:14], v[1:2], v[13:14]
	s_and_saveexec_b32 s22, s0
	s_wait_alu 0xfffe
	s_xor_b32 s22, exec_lo, s22
	s_cbranch_execz .LBB27_24
; %bb.23:                               ;   in Loop: Header=BB27_10 Depth=1
	v_add_co_u32 v15, vcc_lo, s16, v15
	s_wait_alu 0xfffd
	v_add_co_ci_u32_e64 v16, null, s17, v16, vcc_lo
	global_store_b64 v[15:16], v[13:14], off
                                        ; implicit-def: $vgpr15_vgpr16
                                        ; implicit-def: $vgpr13_vgpr14
.LBB27_24:                              ;   in Loop: Header=BB27_10 Depth=1
	s_wait_alu 0xfffe
	s_and_not1_saveexec_b32 s22, s22
	s_cbranch_execz .LBB27_9
; %bb.25:                               ;   in Loop: Header=BB27_10 Depth=1
	v_add_co_u32 v15, vcc_lo, s16, v15
	s_wait_alu 0xfffd
	v_add_co_ci_u32_e64 v16, null, s17, v16, vcc_lo
	global_load_b64 v[17:18], v[15:16], off
	s_wait_loadcnt 0x0
	v_fma_f64 v[13:14], v[3:4], v[17:18], v[13:14]
	global_store_b64 v[15:16], v[13:14], off
	s_branch .LBB27_9
.LBB27_26:
	s_endpgm
	.section	.rodata,"a",@progbits
	.p2align	6, 0x0
	.amdhsa_kernel _ZN9rocsparseL22bsrxmvn_general_kernelILj64ELj8EdlldddEEv20rocsparse_direction_NS_24const_host_device_scalarIT1_EET3_PKS5_PKT2_SA_S7_PKT4_S5_PKT5_S4_PT6_21rocsparse_index_base_b
		.amdhsa_group_segment_fixed_size 0
		.amdhsa_private_segment_fixed_size 0
		.amdhsa_kernarg_size 104
		.amdhsa_user_sgpr_count 2
		.amdhsa_user_sgpr_dispatch_ptr 0
		.amdhsa_user_sgpr_queue_ptr 0
		.amdhsa_user_sgpr_kernarg_segment_ptr 1
		.amdhsa_user_sgpr_dispatch_id 0
		.amdhsa_user_sgpr_private_segment_size 0
		.amdhsa_wavefront_size32 1
		.amdhsa_uses_dynamic_stack 0
		.amdhsa_enable_private_segment 0
		.amdhsa_system_sgpr_workgroup_id_x 1
		.amdhsa_system_sgpr_workgroup_id_y 0
		.amdhsa_system_sgpr_workgroup_id_z 0
		.amdhsa_system_sgpr_workgroup_info 0
		.amdhsa_system_vgpr_workitem_id 0
		.amdhsa_next_free_vgpr 27
		.amdhsa_next_free_sgpr 31
		.amdhsa_reserve_vcc 1
		.amdhsa_float_round_mode_32 0
		.amdhsa_float_round_mode_16_64 0
		.amdhsa_float_denorm_mode_32 3
		.amdhsa_float_denorm_mode_16_64 3
		.amdhsa_fp16_overflow 0
		.amdhsa_workgroup_processor_mode 1
		.amdhsa_memory_ordered 1
		.amdhsa_forward_progress 1
		.amdhsa_inst_pref_size 11
		.amdhsa_round_robin_scheduling 0
		.amdhsa_exception_fp_ieee_invalid_op 0
		.amdhsa_exception_fp_denorm_src 0
		.amdhsa_exception_fp_ieee_div_zero 0
		.amdhsa_exception_fp_ieee_overflow 0
		.amdhsa_exception_fp_ieee_underflow 0
		.amdhsa_exception_fp_ieee_inexact 0
		.amdhsa_exception_int_div_zero 0
	.end_amdhsa_kernel
	.section	.text._ZN9rocsparseL22bsrxmvn_general_kernelILj64ELj8EdlldddEEv20rocsparse_direction_NS_24const_host_device_scalarIT1_EET3_PKS5_PKT2_SA_S7_PKT4_S5_PKT5_S4_PT6_21rocsparse_index_base_b,"axG",@progbits,_ZN9rocsparseL22bsrxmvn_general_kernelILj64ELj8EdlldddEEv20rocsparse_direction_NS_24const_host_device_scalarIT1_EET3_PKS5_PKT2_SA_S7_PKT4_S5_PKT5_S4_PT6_21rocsparse_index_base_b,comdat
.Lfunc_end27:
	.size	_ZN9rocsparseL22bsrxmvn_general_kernelILj64ELj8EdlldddEEv20rocsparse_direction_NS_24const_host_device_scalarIT1_EET3_PKS5_PKT2_SA_S7_PKT4_S5_PKT5_S4_PT6_21rocsparse_index_base_b, .Lfunc_end27-_ZN9rocsparseL22bsrxmvn_general_kernelILj64ELj8EdlldddEEv20rocsparse_direction_NS_24const_host_device_scalarIT1_EET3_PKS5_PKT2_SA_S7_PKT4_S5_PKT5_S4_PT6_21rocsparse_index_base_b
                                        ; -- End function
	.set _ZN9rocsparseL22bsrxmvn_general_kernelILj64ELj8EdlldddEEv20rocsparse_direction_NS_24const_host_device_scalarIT1_EET3_PKS5_PKT2_SA_S7_PKT4_S5_PKT5_S4_PT6_21rocsparse_index_base_b.num_vgpr, 27
	.set _ZN9rocsparseL22bsrxmvn_general_kernelILj64ELj8EdlldddEEv20rocsparse_direction_NS_24const_host_device_scalarIT1_EET3_PKS5_PKT2_SA_S7_PKT4_S5_PKT5_S4_PT6_21rocsparse_index_base_b.num_agpr, 0
	.set _ZN9rocsparseL22bsrxmvn_general_kernelILj64ELj8EdlldddEEv20rocsparse_direction_NS_24const_host_device_scalarIT1_EET3_PKS5_PKT2_SA_S7_PKT4_S5_PKT5_S4_PT6_21rocsparse_index_base_b.numbered_sgpr, 31
	.set _ZN9rocsparseL22bsrxmvn_general_kernelILj64ELj8EdlldddEEv20rocsparse_direction_NS_24const_host_device_scalarIT1_EET3_PKS5_PKT2_SA_S7_PKT4_S5_PKT5_S4_PT6_21rocsparse_index_base_b.num_named_barrier, 0
	.set _ZN9rocsparseL22bsrxmvn_general_kernelILj64ELj8EdlldddEEv20rocsparse_direction_NS_24const_host_device_scalarIT1_EET3_PKS5_PKT2_SA_S7_PKT4_S5_PKT5_S4_PT6_21rocsparse_index_base_b.private_seg_size, 0
	.set _ZN9rocsparseL22bsrxmvn_general_kernelILj64ELj8EdlldddEEv20rocsparse_direction_NS_24const_host_device_scalarIT1_EET3_PKS5_PKT2_SA_S7_PKT4_S5_PKT5_S4_PT6_21rocsparse_index_base_b.uses_vcc, 1
	.set _ZN9rocsparseL22bsrxmvn_general_kernelILj64ELj8EdlldddEEv20rocsparse_direction_NS_24const_host_device_scalarIT1_EET3_PKS5_PKT2_SA_S7_PKT4_S5_PKT5_S4_PT6_21rocsparse_index_base_b.uses_flat_scratch, 0
	.set _ZN9rocsparseL22bsrxmvn_general_kernelILj64ELj8EdlldddEEv20rocsparse_direction_NS_24const_host_device_scalarIT1_EET3_PKS5_PKT2_SA_S7_PKT4_S5_PKT5_S4_PT6_21rocsparse_index_base_b.has_dyn_sized_stack, 0
	.set _ZN9rocsparseL22bsrxmvn_general_kernelILj64ELj8EdlldddEEv20rocsparse_direction_NS_24const_host_device_scalarIT1_EET3_PKS5_PKT2_SA_S7_PKT4_S5_PKT5_S4_PT6_21rocsparse_index_base_b.has_recursion, 0
	.set _ZN9rocsparseL22bsrxmvn_general_kernelILj64ELj8EdlldddEEv20rocsparse_direction_NS_24const_host_device_scalarIT1_EET3_PKS5_PKT2_SA_S7_PKT4_S5_PKT5_S4_PT6_21rocsparse_index_base_b.has_indirect_call, 0
	.section	.AMDGPU.csdata,"",@progbits
; Kernel info:
; codeLenInByte = 1312
; TotalNumSgprs: 33
; NumVgprs: 27
; ScratchSize: 0
; MemoryBound: 0
; FloatMode: 240
; IeeeMode: 1
; LDSByteSize: 0 bytes/workgroup (compile time only)
; SGPRBlocks: 0
; VGPRBlocks: 3
; NumSGPRsForWavesPerEU: 33
; NumVGPRsForWavesPerEU: 27
; Occupancy: 16
; WaveLimiterHint : 1
; COMPUTE_PGM_RSRC2:SCRATCH_EN: 0
; COMPUTE_PGM_RSRC2:USER_SGPR: 2
; COMPUTE_PGM_RSRC2:TRAP_HANDLER: 0
; COMPUTE_PGM_RSRC2:TGID_X_EN: 1
; COMPUTE_PGM_RSRC2:TGID_Y_EN: 0
; COMPUTE_PGM_RSRC2:TGID_Z_EN: 0
; COMPUTE_PGM_RSRC2:TIDIG_COMP_CNT: 0
	.section	.text._ZN9rocsparseL22bsrxmvn_general_kernelILj256ELj16EdlldddEEv20rocsparse_direction_NS_24const_host_device_scalarIT1_EET3_PKS5_PKT2_SA_S7_PKT4_S5_PKT5_S4_PT6_21rocsparse_index_base_b,"axG",@progbits,_ZN9rocsparseL22bsrxmvn_general_kernelILj256ELj16EdlldddEEv20rocsparse_direction_NS_24const_host_device_scalarIT1_EET3_PKS5_PKT2_SA_S7_PKT4_S5_PKT5_S4_PT6_21rocsparse_index_base_b,comdat
	.globl	_ZN9rocsparseL22bsrxmvn_general_kernelILj256ELj16EdlldddEEv20rocsparse_direction_NS_24const_host_device_scalarIT1_EET3_PKS5_PKT2_SA_S7_PKT4_S5_PKT5_S4_PT6_21rocsparse_index_base_b ; -- Begin function _ZN9rocsparseL22bsrxmvn_general_kernelILj256ELj16EdlldddEEv20rocsparse_direction_NS_24const_host_device_scalarIT1_EET3_PKS5_PKT2_SA_S7_PKT4_S5_PKT5_S4_PT6_21rocsparse_index_base_b
	.p2align	8
	.type	_ZN9rocsparseL22bsrxmvn_general_kernelILj256ELj16EdlldddEEv20rocsparse_direction_NS_24const_host_device_scalarIT1_EET3_PKS5_PKT2_SA_S7_PKT4_S5_PKT5_S4_PT6_21rocsparse_index_base_b,@function
_ZN9rocsparseL22bsrxmvn_general_kernelILj256ELj16EdlldddEEv20rocsparse_direction_NS_24const_host_device_scalarIT1_EET3_PKS5_PKT2_SA_S7_PKT4_S5_PKT5_S4_PT6_21rocsparse_index_base_b: ; @_ZN9rocsparseL22bsrxmvn_general_kernelILj256ELj16EdlldddEEv20rocsparse_direction_NS_24const_host_device_scalarIT1_EET3_PKS5_PKT2_SA_S7_PKT4_S5_PKT5_S4_PT6_21rocsparse_index_base_b
; %bb.0:
	s_clause 0x2
	s_load_b64 s[12:13], s[0:1], 0x60
	s_load_b64 s[4:5], s[0:1], 0x8
	;; [unrolled: 1-line block ×3, first 2 shown]
	s_wait_kmcnt 0x0
	s_bitcmp1_b32 s13, 0
	v_dual_mov_b32 v1, s4 :: v_dual_mov_b32 v2, s5
	s_cselect_b32 s6, -1, 0
	s_delay_alu instid0(SALU_CYCLE_1)
	s_and_b32 vcc_lo, exec_lo, s6
	s_xor_b32 s6, s6, -1
	s_cbranch_vccnz .LBB28_2
; %bb.1:
	v_dual_mov_b32 v1, s4 :: v_dual_mov_b32 v2, s5
	flat_load_b64 v[1:2], v[1:2]
.LBB28_2:
	v_dual_mov_b32 v4, s3 :: v_dual_mov_b32 v3, s2
	s_and_not1_b32 vcc_lo, exec_lo, s6
	s_cbranch_vccnz .LBB28_4
; %bb.3:
	v_dual_mov_b32 v4, s3 :: v_dual_mov_b32 v3, s2
	flat_load_b64 v[3:4], v[3:4]
.LBB28_4:
	s_wait_loadcnt_dscnt 0x0
	v_cmp_neq_f64_e32 vcc_lo, 0, v[1:2]
	v_cmp_neq_f64_e64 s2, 1.0, v[3:4]
	s_or_b32 s2, vcc_lo, s2
	s_wait_alu 0xfffe
	s_and_saveexec_b32 s3, s2
	s_cbranch_execz .LBB28_26
; %bb.5:
	s_load_b64 s[4:5], s[0:1], 0x18
	s_mov_b32 s3, 0
	s_mov_b32 s2, ttmp9
	s_wait_alu 0xfffe
	s_mov_b32 s13, s3
	s_wait_kmcnt 0x0
	s_cmp_eq_u64 s[4:5], 0
	s_cbranch_scc1 .LBB28_7
; %bb.6:
	s_lshl_b64 s[2:3], s[2:3], 3
	s_wait_alu 0xfffe
	s_add_nc_u64 s[2:3], s[4:5], s[2:3]
	s_load_b64 s[2:3], s[2:3], 0x0
	s_wait_kmcnt 0x0
	s_sub_nc_u64 s[2:3], s[2:3], s[12:13]
.LBB28_7:
	s_load_b64 s[14:15], s[0:1], 0x40
	v_lshrrev_b32_e32 v5, 4, v0
	v_mov_b32_e32 v6, 0
	s_wait_kmcnt 0x0
	s_delay_alu instid0(VALU_DEP_1)
	v_cmp_gt_i64_e32 vcc_lo, s[14:15], v[5:6]
	s_and_b32 exec_lo, exec_lo, vcc_lo
	s_cbranch_execz .LBB28_26
; %bb.8:
	s_clause 0x2
	s_load_b256 s[4:11], s[0:1], 0x20
	s_load_b64 s[16:17], s[0:1], 0x48
	s_load_b64 s[18:19], s[0:1], 0x58
	s_lshl_b64 s[20:21], s[2:3], 3
	v_dual_mov_b32 v8, v6 :: v_dual_and_b32 v7, 15, v0
	v_mbcnt_lo_u32_b32 v0, -1, 0
	s_load_b32 s26, s[0:1], 0x0
	v_cmp_eq_f64_e64 s0, 0, v[3:4]
	s_mul_u64 s[22:23], s[2:3], s[14:15]
	v_cmp_gt_u64_e64 s1, s[14:15], v[7:8]
	v_xor_b32_e32 v9, 8, v0
	v_xor_b32_e32 v10, 4, v0
	;; [unrolled: 1-line block ×4, first 2 shown]
	v_cmp_eq_u32_e64 s2, 15, v7
	v_cmp_gt_i32_e32 vcc_lo, 32, v9
	v_lshlrev_b32_e32 v13, 3, v7
	s_mov_b32 s28, 0
	s_wait_kmcnt 0x0
	s_add_nc_u64 s[4:5], s[4:5], s[20:21]
	v_cndmask_b32_e32 v14, v0, v9, vcc_lo
	s_load_b64 s[24:25], s[4:5], 0x0
	v_cmp_gt_i32_e32 vcc_lo, 32, v10
	s_add_nc_u64 s[20:21], s[6:7], s[20:21]
	s_cmp_eq_u64 s[6:7], 0
	s_add_nc_u64 s[4:5], s[4:5], 8
	s_wait_alu 0xfffe
	s_cselect_b32 s5, s5, s21
	s_cselect_b32 s4, s4, s20
	s_wait_alu 0xfffd
	v_cndmask_b32_e32 v15, v0, v10, vcc_lo
	v_cmp_gt_i32_e32 vcc_lo, 32, v11
	s_load_b64 s[20:21], s[4:5], 0x0
	s_cmp_lg_u32 s26, 0
	s_cselect_b32 s29, -1, 0
	v_cndmask_b32_e32 v11, v0, v11, vcc_lo
	v_cmp_gt_i32_e32 vcc_lo, 32, v12
	s_wait_alu 0xfffd
	v_cndmask_b32_e32 v12, v0, v12, vcc_lo
	s_wait_kmcnt 0x0
	s_sub_nc_u64 s[4:5], s[24:25], s[12:13]
	v_lshlrev_b32_e32 v0, 2, v14
	s_wait_alu 0xfffe
	v_mad_co_u64_u32 v[9:10], null, s14, s4, v[5:6]
	s_mul_i32 s3, s15, s4
	s_mul_i32 s6, s14, s5
	v_lshlrev_b32_e32 v24, 2, v11
	v_lshlrev_b32_e32 v23, 2, v15
	;; [unrolled: 1-line block ×3, first 2 shown]
	v_cmp_lt_i64_e64 s30, s[24:25], s[20:21]
	s_wait_alu 0xfffe
	v_add3_u32 v11, s6, s3, v10
	v_mul_lo_u32 v14, s15, v9
	v_mad_co_u64_u32 v[9:10], null, s14, v9, 0
	s_lshl_b64 s[6:7], s[22:23], 3
	v_mul_lo_u32 v15, s14, v11
	v_add_co_u32 v11, s3, s16, v13
	s_wait_alu 0xf1ff
	v_add_co_ci_u32_e64 v12, null, s17, 0, s3
	s_wait_alu 0xfffe
	s_add_nc_u64 s[6:7], s[18:19], s[6:7]
	s_sub_nc_u64 s[16:17], s[20:21], s[12:13]
	s_lshl_b64 s[18:19], s[14:15], 3
	v_add3_u32 v10, v10, v15, v14
	s_lshl_b64 s[20:21], s[14:15], 4
	s_mul_u64 s[22:23], s[14:15], s[14:15]
	s_branch .LBB28_10
.LBB28_9:                               ;   in Loop: Header=BB28_10 Depth=1
	s_wait_alu 0xfffe
	s_or_b32 exec_lo, exec_lo, s3
	v_add_co_u32 v5, vcc_lo, v5, 16
	s_wait_alu 0xfffd
	v_add_co_ci_u32_e64 v6, null, 0, v6, vcc_lo
	v_add_co_u32 v9, s3, v9, s20
	s_wait_alu 0xf1ff
	v_add_co_ci_u32_e64 v10, null, s21, v10, s3
	s_delay_alu instid0(VALU_DEP_3) | instskip(SKIP_1) | instid1(SALU_CYCLE_1)
	v_cmp_le_i64_e32 vcc_lo, s[14:15], v[5:6]
	s_or_b32 s28, vcc_lo, s28
	s_and_not1_b32 exec_lo, exec_lo, s28
	s_cbranch_execz .LBB28_26
.LBB28_10:                              ; =>This Loop Header: Depth=1
                                        ;     Child Loop BB28_14 Depth 2
                                        ;       Child Loop BB28_17 Depth 3
	v_mov_b32_e32 v13, 0
	v_mov_b32_e32 v14, 0
	s_and_not1_b32 vcc_lo, exec_lo, s30
	s_wait_alu 0xfffe
	s_cbranch_vccnz .LBB28_21
; %bb.11:                               ;   in Loop: Header=BB28_10 Depth=1
	s_wait_dscnt 0x0
	v_dual_mov_b32 v13, 0 :: v_dual_mov_b32 v16, v10
	v_dual_mov_b32 v14, 0 :: v_dual_mov_b32 v15, v9
	s_mov_b64 s[24:25], s[4:5]
	s_branch .LBB28_14
.LBB28_12:                              ;   in Loop: Header=BB28_14 Depth=2
	s_or_b32 exec_lo, exec_lo, s33
.LBB28_13:                              ;   in Loop: Header=BB28_14 Depth=2
	s_delay_alu instid0(SALU_CYCLE_1)
	s_or_b32 exec_lo, exec_lo, s31
	s_wait_alu 0xfffe
	s_add_nc_u64 s[24:25], s[24:25], 1
	v_add_co_u32 v15, vcc_lo, v15, s22
	s_wait_alu 0xfffe
	v_cmp_ge_i64_e64 s3, s[24:25], s[16:17]
	s_wait_alu 0xfffd
	v_add_co_ci_u32_e64 v16, null, s23, v16, vcc_lo
	s_and_b32 vcc_lo, exec_lo, s3
	s_wait_alu 0xfffe
	s_cbranch_vccnz .LBB28_21
.LBB28_14:                              ;   Parent Loop BB28_10 Depth=1
                                        ; =>  This Loop Header: Depth=2
                                        ;       Child Loop BB28_17 Depth 3
	s_and_saveexec_b32 s31, s1
	s_cbranch_execz .LBB28_13
; %bb.15:                               ;   in Loop: Header=BB28_14 Depth=2
	s_wait_alu 0xfffe
	s_lshl_b64 s[26:27], s[24:25], 3
	v_dual_mov_b32 v20, v8 :: v_dual_mov_b32 v19, v7
	s_wait_alu 0xfffe
	s_add_nc_u64 s[26:27], s[8:9], s[26:27]
	s_mov_b32 s33, 0
	s_load_b64 s[26:27], s[26:27], 0x0
	s_wait_kmcnt 0x0
	s_sub_nc_u64 s[26:27], s[26:27], s[12:13]
	s_wait_alu 0xfffe
	v_mad_co_u64_u32 v[17:18], null, s18, s26, v[11:12]
	s_mul_i32 s3, s19, s26
	s_mul_i32 s26, s18, s27
	s_wait_alu 0xfffe
	v_add3_u32 v18, s26, s3, v18
	s_mul_u64 s[26:27], s[24:25], s[14:15]
	s_branch .LBB28_17
.LBB28_16:                              ;   in Loop: Header=BB28_17 Depth=3
	s_delay_alu instid0(VALU_DEP_1) | instskip(NEXT) | instid1(VALU_DEP_1)
	v_lshlrev_b64_e32 v[21:22], 3, v[21:22]
	v_add_co_u32 v21, vcc_lo, s10, v21
	s_wait_alu 0xfffd
	s_delay_alu instid0(VALU_DEP_2)
	v_add_co_ci_u32_e64 v22, null, s11, v22, vcc_lo
	v_add_co_u32 v19, vcc_lo, v19, 16
	s_wait_alu 0xfffd
	v_add_co_ci_u32_e64 v20, null, 0, v20, vcc_lo
	global_load_b64 v[21:22], v[21:22], off
	global_load_b64 v[26:27], v[17:18], off
	v_add_co_u32 v17, s3, 0x80, v17
	v_cmp_le_i64_e32 vcc_lo, s[14:15], v[19:20]
	s_wait_alu 0xf1ff
	v_add_co_ci_u32_e64 v18, null, 0, v18, s3
	s_or_b32 s33, vcc_lo, s33
	s_wait_loadcnt 0x0
	v_fma_f64 v[13:14], v[21:22], v[26:27], v[13:14]
	s_and_not1_b32 exec_lo, exec_lo, s33
	s_cbranch_execz .LBB28_12
.LBB28_17:                              ;   Parent Loop BB28_10 Depth=1
                                        ;     Parent Loop BB28_14 Depth=2
                                        ; =>    This Inner Loop Header: Depth=3
	s_and_b32 vcc_lo, exec_lo, s29
	s_wait_alu 0xfffe
	s_cbranch_vccz .LBB28_19
; %bb.18:                               ;   in Loop: Header=BB28_17 Depth=3
	v_add_co_u32 v21, vcc_lo, v19, s26
	s_wait_alu 0xfffd
	v_add_co_ci_u32_e64 v22, null, s27, v20, vcc_lo
	s_delay_alu instid0(VALU_DEP_2) | instskip(NEXT) | instid1(VALU_DEP_2)
	v_mul_lo_u32 v26, v21, s15
	v_mul_lo_u32 v27, v22, s14
	v_mad_co_u64_u32 v[21:22], null, v21, s14, v[5:6]
	s_delay_alu instid0(VALU_DEP_1)
	v_add3_u32 v22, v27, v22, v26
	s_cbranch_execnz .LBB28_16
	s_branch .LBB28_20
.LBB28_19:                              ;   in Loop: Header=BB28_17 Depth=3
                                        ; implicit-def: $vgpr21_vgpr22
.LBB28_20:                              ;   in Loop: Header=BB28_17 Depth=3
	v_add_co_u32 v21, vcc_lo, v15, v19
	s_wait_alu 0xfffd
	v_add_co_ci_u32_e64 v22, null, v16, v20, vcc_lo
	s_branch .LBB28_16
.LBB28_21:                              ;   in Loop: Header=BB28_10 Depth=1
	s_wait_dscnt 0x1
	ds_bpermute_b32 v15, v0, v13
	s_wait_dscnt 0x1
	ds_bpermute_b32 v16, v0, v14
	s_wait_dscnt 0x0
	v_add_f64_e32 v[13:14], v[13:14], v[15:16]
	ds_bpermute_b32 v15, v23, v13
	ds_bpermute_b32 v16, v23, v14
	s_wait_dscnt 0x0
	v_add_f64_e32 v[13:14], v[13:14], v[15:16]
	ds_bpermute_b32 v15, v24, v13
	;; [unrolled: 4-line block ×3, first 2 shown]
	ds_bpermute_b32 v16, v25, v14
	s_and_saveexec_b32 s3, s2
	s_cbranch_execz .LBB28_9
; %bb.22:                               ;   in Loop: Header=BB28_10 Depth=1
	s_wait_dscnt 0x0
	v_add_f64_e32 v[13:14], v[13:14], v[15:16]
	v_lshlrev_b64_e32 v[15:16], 3, v[5:6]
	s_delay_alu instid0(VALU_DEP_2)
	v_mul_f64_e32 v[13:14], v[1:2], v[13:14]
	s_and_saveexec_b32 s24, s0
	s_wait_alu 0xfffe
	s_xor_b32 s24, exec_lo, s24
	s_cbranch_execz .LBB28_24
; %bb.23:                               ;   in Loop: Header=BB28_10 Depth=1
	v_add_co_u32 v15, vcc_lo, s6, v15
	s_wait_alu 0xfffd
	v_add_co_ci_u32_e64 v16, null, s7, v16, vcc_lo
	global_store_b64 v[15:16], v[13:14], off
                                        ; implicit-def: $vgpr15_vgpr16
                                        ; implicit-def: $vgpr13_vgpr14
.LBB28_24:                              ;   in Loop: Header=BB28_10 Depth=1
	s_wait_alu 0xfffe
	s_and_not1_saveexec_b32 s24, s24
	s_cbranch_execz .LBB28_9
; %bb.25:                               ;   in Loop: Header=BB28_10 Depth=1
	v_add_co_u32 v15, vcc_lo, s6, v15
	s_wait_alu 0xfffd
	v_add_co_ci_u32_e64 v16, null, s7, v16, vcc_lo
	global_load_b64 v[17:18], v[15:16], off
	s_wait_loadcnt 0x0
	v_fma_f64 v[13:14], v[3:4], v[17:18], v[13:14]
	global_store_b64 v[15:16], v[13:14], off
	s_branch .LBB28_9
.LBB28_26:
	s_endpgm
	.section	.rodata,"a",@progbits
	.p2align	6, 0x0
	.amdhsa_kernel _ZN9rocsparseL22bsrxmvn_general_kernelILj256ELj16EdlldddEEv20rocsparse_direction_NS_24const_host_device_scalarIT1_EET3_PKS5_PKT2_SA_S7_PKT4_S5_PKT5_S4_PT6_21rocsparse_index_base_b
		.amdhsa_group_segment_fixed_size 0
		.amdhsa_private_segment_fixed_size 0
		.amdhsa_kernarg_size 104
		.amdhsa_user_sgpr_count 2
		.amdhsa_user_sgpr_dispatch_ptr 0
		.amdhsa_user_sgpr_queue_ptr 0
		.amdhsa_user_sgpr_kernarg_segment_ptr 1
		.amdhsa_user_sgpr_dispatch_id 0
		.amdhsa_user_sgpr_private_segment_size 0
		.amdhsa_wavefront_size32 1
		.amdhsa_uses_dynamic_stack 0
		.amdhsa_enable_private_segment 0
		.amdhsa_system_sgpr_workgroup_id_x 1
		.amdhsa_system_sgpr_workgroup_id_y 0
		.amdhsa_system_sgpr_workgroup_id_z 0
		.amdhsa_system_sgpr_workgroup_info 0
		.amdhsa_system_vgpr_workitem_id 0
		.amdhsa_next_free_vgpr 28
		.amdhsa_next_free_sgpr 34
		.amdhsa_reserve_vcc 1
		.amdhsa_float_round_mode_32 0
		.amdhsa_float_round_mode_16_64 0
		.amdhsa_float_denorm_mode_32 3
		.amdhsa_float_denorm_mode_16_64 3
		.amdhsa_fp16_overflow 0
		.amdhsa_workgroup_processor_mode 1
		.amdhsa_memory_ordered 1
		.amdhsa_forward_progress 1
		.amdhsa_inst_pref_size 11
		.amdhsa_round_robin_scheduling 0
		.amdhsa_exception_fp_ieee_invalid_op 0
		.amdhsa_exception_fp_denorm_src 0
		.amdhsa_exception_fp_ieee_div_zero 0
		.amdhsa_exception_fp_ieee_overflow 0
		.amdhsa_exception_fp_ieee_underflow 0
		.amdhsa_exception_fp_ieee_inexact 0
		.amdhsa_exception_int_div_zero 0
	.end_amdhsa_kernel
	.section	.text._ZN9rocsparseL22bsrxmvn_general_kernelILj256ELj16EdlldddEEv20rocsparse_direction_NS_24const_host_device_scalarIT1_EET3_PKS5_PKT2_SA_S7_PKT4_S5_PKT5_S4_PT6_21rocsparse_index_base_b,"axG",@progbits,_ZN9rocsparseL22bsrxmvn_general_kernelILj256ELj16EdlldddEEv20rocsparse_direction_NS_24const_host_device_scalarIT1_EET3_PKS5_PKT2_SA_S7_PKT4_S5_PKT5_S4_PT6_21rocsparse_index_base_b,comdat
.Lfunc_end28:
	.size	_ZN9rocsparseL22bsrxmvn_general_kernelILj256ELj16EdlldddEEv20rocsparse_direction_NS_24const_host_device_scalarIT1_EET3_PKS5_PKT2_SA_S7_PKT4_S5_PKT5_S4_PT6_21rocsparse_index_base_b, .Lfunc_end28-_ZN9rocsparseL22bsrxmvn_general_kernelILj256ELj16EdlldddEEv20rocsparse_direction_NS_24const_host_device_scalarIT1_EET3_PKS5_PKT2_SA_S7_PKT4_S5_PKT5_S4_PT6_21rocsparse_index_base_b
                                        ; -- End function
	.set _ZN9rocsparseL22bsrxmvn_general_kernelILj256ELj16EdlldddEEv20rocsparse_direction_NS_24const_host_device_scalarIT1_EET3_PKS5_PKT2_SA_S7_PKT4_S5_PKT5_S4_PT6_21rocsparse_index_base_b.num_vgpr, 28
	.set _ZN9rocsparseL22bsrxmvn_general_kernelILj256ELj16EdlldddEEv20rocsparse_direction_NS_24const_host_device_scalarIT1_EET3_PKS5_PKT2_SA_S7_PKT4_S5_PKT5_S4_PT6_21rocsparse_index_base_b.num_agpr, 0
	.set _ZN9rocsparseL22bsrxmvn_general_kernelILj256ELj16EdlldddEEv20rocsparse_direction_NS_24const_host_device_scalarIT1_EET3_PKS5_PKT2_SA_S7_PKT4_S5_PKT5_S4_PT6_21rocsparse_index_base_b.numbered_sgpr, 34
	.set _ZN9rocsparseL22bsrxmvn_general_kernelILj256ELj16EdlldddEEv20rocsparse_direction_NS_24const_host_device_scalarIT1_EET3_PKS5_PKT2_SA_S7_PKT4_S5_PKT5_S4_PT6_21rocsparse_index_base_b.num_named_barrier, 0
	.set _ZN9rocsparseL22bsrxmvn_general_kernelILj256ELj16EdlldddEEv20rocsparse_direction_NS_24const_host_device_scalarIT1_EET3_PKS5_PKT2_SA_S7_PKT4_S5_PKT5_S4_PT6_21rocsparse_index_base_b.private_seg_size, 0
	.set _ZN9rocsparseL22bsrxmvn_general_kernelILj256ELj16EdlldddEEv20rocsparse_direction_NS_24const_host_device_scalarIT1_EET3_PKS5_PKT2_SA_S7_PKT4_S5_PKT5_S4_PT6_21rocsparse_index_base_b.uses_vcc, 1
	.set _ZN9rocsparseL22bsrxmvn_general_kernelILj256ELj16EdlldddEEv20rocsparse_direction_NS_24const_host_device_scalarIT1_EET3_PKS5_PKT2_SA_S7_PKT4_S5_PKT5_S4_PT6_21rocsparse_index_base_b.uses_flat_scratch, 0
	.set _ZN9rocsparseL22bsrxmvn_general_kernelILj256ELj16EdlldddEEv20rocsparse_direction_NS_24const_host_device_scalarIT1_EET3_PKS5_PKT2_SA_S7_PKT4_S5_PKT5_S4_PT6_21rocsparse_index_base_b.has_dyn_sized_stack, 0
	.set _ZN9rocsparseL22bsrxmvn_general_kernelILj256ELj16EdlldddEEv20rocsparse_direction_NS_24const_host_device_scalarIT1_EET3_PKS5_PKT2_SA_S7_PKT4_S5_PKT5_S4_PT6_21rocsparse_index_base_b.has_recursion, 0
	.set _ZN9rocsparseL22bsrxmvn_general_kernelILj256ELj16EdlldddEEv20rocsparse_direction_NS_24const_host_device_scalarIT1_EET3_PKS5_PKT2_SA_S7_PKT4_S5_PKT5_S4_PT6_21rocsparse_index_base_b.has_indirect_call, 0
	.section	.AMDGPU.csdata,"",@progbits
; Kernel info:
; codeLenInByte = 1356
; TotalNumSgprs: 36
; NumVgprs: 28
; ScratchSize: 0
; MemoryBound: 0
; FloatMode: 240
; IeeeMode: 1
; LDSByteSize: 0 bytes/workgroup (compile time only)
; SGPRBlocks: 0
; VGPRBlocks: 3
; NumSGPRsForWavesPerEU: 36
; NumVGPRsForWavesPerEU: 28
; Occupancy: 16
; WaveLimiterHint : 1
; COMPUTE_PGM_RSRC2:SCRATCH_EN: 0
; COMPUTE_PGM_RSRC2:USER_SGPR: 2
; COMPUTE_PGM_RSRC2:TRAP_HANDLER: 0
; COMPUTE_PGM_RSRC2:TGID_X_EN: 1
; COMPUTE_PGM_RSRC2:TGID_Y_EN: 0
; COMPUTE_PGM_RSRC2:TGID_Z_EN: 0
; COMPUTE_PGM_RSRC2:TIDIG_COMP_CNT: 0
	.section	.text._ZN9rocsparseL22bsrxmvn_general_kernelILj1024ELj32EdlldddEEv20rocsparse_direction_NS_24const_host_device_scalarIT1_EET3_PKS5_PKT2_SA_S7_PKT4_S5_PKT5_S4_PT6_21rocsparse_index_base_b,"axG",@progbits,_ZN9rocsparseL22bsrxmvn_general_kernelILj1024ELj32EdlldddEEv20rocsparse_direction_NS_24const_host_device_scalarIT1_EET3_PKS5_PKT2_SA_S7_PKT4_S5_PKT5_S4_PT6_21rocsparse_index_base_b,comdat
	.globl	_ZN9rocsparseL22bsrxmvn_general_kernelILj1024ELj32EdlldddEEv20rocsparse_direction_NS_24const_host_device_scalarIT1_EET3_PKS5_PKT2_SA_S7_PKT4_S5_PKT5_S4_PT6_21rocsparse_index_base_b ; -- Begin function _ZN9rocsparseL22bsrxmvn_general_kernelILj1024ELj32EdlldddEEv20rocsparse_direction_NS_24const_host_device_scalarIT1_EET3_PKS5_PKT2_SA_S7_PKT4_S5_PKT5_S4_PT6_21rocsparse_index_base_b
	.p2align	8
	.type	_ZN9rocsparseL22bsrxmvn_general_kernelILj1024ELj32EdlldddEEv20rocsparse_direction_NS_24const_host_device_scalarIT1_EET3_PKS5_PKT2_SA_S7_PKT4_S5_PKT5_S4_PT6_21rocsparse_index_base_b,@function
_ZN9rocsparseL22bsrxmvn_general_kernelILj1024ELj32EdlldddEEv20rocsparse_direction_NS_24const_host_device_scalarIT1_EET3_PKS5_PKT2_SA_S7_PKT4_S5_PKT5_S4_PT6_21rocsparse_index_base_b: ; @_ZN9rocsparseL22bsrxmvn_general_kernelILj1024ELj32EdlldddEEv20rocsparse_direction_NS_24const_host_device_scalarIT1_EET3_PKS5_PKT2_SA_S7_PKT4_S5_PKT5_S4_PT6_21rocsparse_index_base_b
; %bb.0:
	s_clause 0x2
	s_load_b64 s[12:13], s[0:1], 0x60
	s_load_b64 s[4:5], s[0:1], 0x8
	;; [unrolled: 1-line block ×3, first 2 shown]
	s_wait_kmcnt 0x0
	s_bitcmp1_b32 s13, 0
	v_dual_mov_b32 v1, s4 :: v_dual_mov_b32 v2, s5
	s_cselect_b32 s6, -1, 0
	s_delay_alu instid0(SALU_CYCLE_1)
	s_and_b32 vcc_lo, exec_lo, s6
	s_xor_b32 s6, s6, -1
	s_cbranch_vccnz .LBB29_2
; %bb.1:
	v_dual_mov_b32 v1, s4 :: v_dual_mov_b32 v2, s5
	flat_load_b64 v[1:2], v[1:2]
.LBB29_2:
	v_dual_mov_b32 v4, s3 :: v_dual_mov_b32 v3, s2
	s_and_not1_b32 vcc_lo, exec_lo, s6
	s_cbranch_vccnz .LBB29_4
; %bb.3:
	v_dual_mov_b32 v4, s3 :: v_dual_mov_b32 v3, s2
	flat_load_b64 v[3:4], v[3:4]
.LBB29_4:
	s_wait_loadcnt_dscnt 0x0
	v_cmp_neq_f64_e32 vcc_lo, 0, v[1:2]
	v_cmp_neq_f64_e64 s2, 1.0, v[3:4]
	s_or_b32 s2, vcc_lo, s2
	s_wait_alu 0xfffe
	s_and_saveexec_b32 s3, s2
	s_cbranch_execz .LBB29_26
; %bb.5:
	s_load_b64 s[4:5], s[0:1], 0x18
	s_mov_b32 s3, 0
	s_mov_b32 s2, ttmp9
	s_wait_alu 0xfffe
	s_mov_b32 s13, s3
	s_wait_kmcnt 0x0
	s_cmp_eq_u64 s[4:5], 0
	s_cbranch_scc1 .LBB29_7
; %bb.6:
	s_lshl_b64 s[2:3], s[2:3], 3
	s_wait_alu 0xfffe
	s_add_nc_u64 s[2:3], s[4:5], s[2:3]
	s_load_b64 s[2:3], s[2:3], 0x0
	s_wait_kmcnt 0x0
	s_sub_nc_u64 s[2:3], s[2:3], s[12:13]
.LBB29_7:
	s_load_b64 s[14:15], s[0:1], 0x40
	v_lshrrev_b32_e32 v5, 5, v0
	v_mov_b32_e32 v6, 0
	s_wait_kmcnt 0x0
	s_delay_alu instid0(VALU_DEP_1)
	v_cmp_gt_i64_e32 vcc_lo, s[14:15], v[5:6]
	s_and_b32 exec_lo, exec_lo, vcc_lo
	s_cbranch_execz .LBB29_26
; %bb.8:
	s_clause 0x2
	s_load_b256 s[4:11], s[0:1], 0x20
	s_load_b64 s[16:17], s[0:1], 0x48
	s_load_b64 s[18:19], s[0:1], 0x58
	v_dual_mov_b32 v8, v6 :: v_dual_and_b32 v7, 31, v0
	v_mbcnt_lo_u32_b32 v0, -1, 0
	s_lshl_b64 s[20:21], s[2:3], 3
	s_load_b32 s26, s[0:1], 0x0
	v_cmp_eq_f64_e64 s0, 0, v[3:4]
	s_mul_u64 s[22:23], s[2:3], s[14:15]
	v_xor_b32_e32 v9, 16, v0
	v_xor_b32_e32 v10, 8, v0
	;; [unrolled: 1-line block ×5, first 2 shown]
	v_cmp_gt_i32_e32 vcc_lo, 32, v9
	v_lshlrev_b32_e32 v14, 3, v7
	v_cmp_gt_u64_e64 s1, s[14:15], v[7:8]
	v_cmp_eq_u32_e64 s2, 31, v7
	s_mov_b32 s28, 0
	s_wait_kmcnt 0x0
	s_add_nc_u64 s[4:5], s[4:5], s[20:21]
	v_cndmask_b32_e32 v9, v0, v9, vcc_lo
	s_load_b64 s[24:25], s[4:5], 0x0
	v_cmp_gt_i32_e32 vcc_lo, 32, v10
	s_add_nc_u64 s[20:21], s[6:7], s[20:21]
	s_cmp_eq_u64 s[6:7], 0
	s_add_nc_u64 s[4:5], s[4:5], 8
	s_wait_alu 0xfffd
	v_cndmask_b32_e32 v15, v0, v10, vcc_lo
	v_cmp_gt_i32_e32 vcc_lo, 32, v11
	s_wait_alu 0xfffe
	s_cselect_b32 s5, s5, s21
	s_cselect_b32 s4, s4, s20
	s_cmp_lg_u32 s26, 0
	s_load_b64 s[20:21], s[4:5], 0x0
	v_cndmask_b32_e32 v11, v0, v11, vcc_lo
	v_cmp_gt_i32_e32 vcc_lo, 32, v12
	s_cselect_b32 s29, -1, 0
	s_wait_alu 0xfffd
	v_cndmask_b32_e32 v12, v0, v12, vcc_lo
	v_cmp_gt_i32_e32 vcc_lo, 32, v13
	s_wait_kmcnt 0x0
	s_sub_nc_u64 s[4:5], s[24:25], s[12:13]
	s_wait_alu 0xfffe
	s_mul_i32 s3, s15, s4
	s_mul_i32 s6, s14, s5
	s_wait_alu 0xfffd
	v_cndmask_b32_e32 v13, v0, v13, vcc_lo
	v_lshlrev_b32_e32 v0, 2, v9
	v_mad_co_u64_u32 v[9:10], null, s14, s4, v[5:6]
	v_lshlrev_b32_e32 v23, 2, v15
	s_delay_alu instid0(VALU_DEP_4)
	v_lshlrev_b32_e32 v26, 2, v13
	v_lshlrev_b32_e32 v24, 2, v11
	v_cmp_lt_i64_e64 s30, s[24:25], s[20:21]
	v_lshlrev_b32_e32 v25, 2, v12
	s_wait_alu 0xfffe
	v_add3_u32 v11, s6, s3, v10
	v_mul_lo_u32 v13, s15, v9
	v_mad_co_u64_u32 v[9:10], null, s14, v9, 0
	s_lshl_b64 s[6:7], s[22:23], 3
	v_mul_lo_u32 v15, s14, v11
	v_add_co_u32 v11, s3, s16, v14
	s_wait_alu 0xf1ff
	v_add_co_ci_u32_e64 v12, null, s17, 0, s3
	s_wait_alu 0xfffe
	s_add_nc_u64 s[6:7], s[18:19], s[6:7]
	s_sub_nc_u64 s[16:17], s[20:21], s[12:13]
	s_lshl_b64 s[18:19], s[14:15], 3
	v_add3_u32 v10, v10, v15, v13
	s_lshl_b64 s[20:21], s[14:15], 5
	s_mul_u64 s[22:23], s[14:15], s[14:15]
	s_branch .LBB29_10
.LBB29_9:                               ;   in Loop: Header=BB29_10 Depth=1
	s_wait_alu 0xfffe
	s_or_b32 exec_lo, exec_lo, s3
	v_add_co_u32 v5, vcc_lo, v5, 32
	s_wait_alu 0xfffd
	v_add_co_ci_u32_e64 v6, null, 0, v6, vcc_lo
	v_add_co_u32 v9, s3, v9, s20
	s_wait_alu 0xf1ff
	v_add_co_ci_u32_e64 v10, null, s21, v10, s3
	s_delay_alu instid0(VALU_DEP_3) | instskip(SKIP_1) | instid1(SALU_CYCLE_1)
	v_cmp_le_i64_e32 vcc_lo, s[14:15], v[5:6]
	s_or_b32 s28, vcc_lo, s28
	s_and_not1_b32 exec_lo, exec_lo, s28
	s_cbranch_execz .LBB29_26
.LBB29_10:                              ; =>This Loop Header: Depth=1
                                        ;     Child Loop BB29_14 Depth 2
                                        ;       Child Loop BB29_17 Depth 3
	v_mov_b32_e32 v13, 0
	v_mov_b32_e32 v14, 0
	s_and_not1_b32 vcc_lo, exec_lo, s30
	s_wait_alu 0xfffe
	s_cbranch_vccnz .LBB29_21
; %bb.11:                               ;   in Loop: Header=BB29_10 Depth=1
	s_wait_dscnt 0x0
	v_dual_mov_b32 v13, 0 :: v_dual_mov_b32 v16, v10
	v_dual_mov_b32 v14, 0 :: v_dual_mov_b32 v15, v9
	s_mov_b64 s[24:25], s[4:5]
	s_branch .LBB29_14
.LBB29_12:                              ;   in Loop: Header=BB29_14 Depth=2
	s_or_b32 exec_lo, exec_lo, s33
.LBB29_13:                              ;   in Loop: Header=BB29_14 Depth=2
	s_delay_alu instid0(SALU_CYCLE_1)
	s_or_b32 exec_lo, exec_lo, s31
	s_wait_alu 0xfffe
	s_add_nc_u64 s[24:25], s[24:25], 1
	v_add_co_u32 v15, vcc_lo, v15, s22
	s_wait_alu 0xfffe
	v_cmp_ge_i64_e64 s3, s[24:25], s[16:17]
	s_wait_alu 0xfffd
	v_add_co_ci_u32_e64 v16, null, s23, v16, vcc_lo
	s_and_b32 vcc_lo, exec_lo, s3
	s_wait_alu 0xfffe
	s_cbranch_vccnz .LBB29_21
.LBB29_14:                              ;   Parent Loop BB29_10 Depth=1
                                        ; =>  This Loop Header: Depth=2
                                        ;       Child Loop BB29_17 Depth 3
	s_and_saveexec_b32 s31, s1
	s_cbranch_execz .LBB29_13
; %bb.15:                               ;   in Loop: Header=BB29_14 Depth=2
	s_wait_alu 0xfffe
	s_lshl_b64 s[26:27], s[24:25], 3
	v_dual_mov_b32 v20, v8 :: v_dual_mov_b32 v19, v7
	s_wait_alu 0xfffe
	s_add_nc_u64 s[26:27], s[8:9], s[26:27]
	s_mov_b32 s33, 0
	s_load_b64 s[26:27], s[26:27], 0x0
	s_wait_kmcnt 0x0
	s_sub_nc_u64 s[26:27], s[26:27], s[12:13]
	s_wait_alu 0xfffe
	v_mad_co_u64_u32 v[17:18], null, s18, s26, v[11:12]
	s_mul_i32 s3, s19, s26
	s_mul_i32 s26, s18, s27
	s_wait_alu 0xfffe
	v_add3_u32 v18, s26, s3, v18
	s_mul_u64 s[26:27], s[24:25], s[14:15]
	s_branch .LBB29_17
.LBB29_16:                              ;   in Loop: Header=BB29_17 Depth=3
	s_delay_alu instid0(VALU_DEP_1) | instskip(NEXT) | instid1(VALU_DEP_1)
	v_lshlrev_b64_e32 v[21:22], 3, v[21:22]
	v_add_co_u32 v21, vcc_lo, s10, v21
	s_wait_alu 0xfffd
	s_delay_alu instid0(VALU_DEP_2)
	v_add_co_ci_u32_e64 v22, null, s11, v22, vcc_lo
	v_add_co_u32 v19, vcc_lo, v19, 32
	s_wait_alu 0xfffd
	v_add_co_ci_u32_e64 v20, null, 0, v20, vcc_lo
	global_load_b64 v[21:22], v[21:22], off
	global_load_b64 v[27:28], v[17:18], off
	v_add_co_u32 v17, s3, 0x100, v17
	v_cmp_le_i64_e32 vcc_lo, s[14:15], v[19:20]
	s_wait_alu 0xf1ff
	v_add_co_ci_u32_e64 v18, null, 0, v18, s3
	s_or_b32 s33, vcc_lo, s33
	s_wait_loadcnt 0x0
	v_fma_f64 v[13:14], v[21:22], v[27:28], v[13:14]
	s_and_not1_b32 exec_lo, exec_lo, s33
	s_cbranch_execz .LBB29_12
.LBB29_17:                              ;   Parent Loop BB29_10 Depth=1
                                        ;     Parent Loop BB29_14 Depth=2
                                        ; =>    This Inner Loop Header: Depth=3
	s_and_b32 vcc_lo, exec_lo, s29
	s_wait_alu 0xfffe
	s_cbranch_vccz .LBB29_19
; %bb.18:                               ;   in Loop: Header=BB29_17 Depth=3
	v_add_co_u32 v21, vcc_lo, v19, s26
	s_wait_alu 0xfffd
	v_add_co_ci_u32_e64 v22, null, s27, v20, vcc_lo
	s_delay_alu instid0(VALU_DEP_2) | instskip(NEXT) | instid1(VALU_DEP_2)
	v_mul_lo_u32 v27, v21, s15
	v_mul_lo_u32 v28, v22, s14
	v_mad_co_u64_u32 v[21:22], null, v21, s14, v[5:6]
	s_delay_alu instid0(VALU_DEP_1)
	v_add3_u32 v22, v28, v22, v27
	s_cbranch_execnz .LBB29_16
	s_branch .LBB29_20
.LBB29_19:                              ;   in Loop: Header=BB29_17 Depth=3
                                        ; implicit-def: $vgpr21_vgpr22
.LBB29_20:                              ;   in Loop: Header=BB29_17 Depth=3
	v_add_co_u32 v21, vcc_lo, v15, v19
	s_wait_alu 0xfffd
	v_add_co_ci_u32_e64 v22, null, v16, v20, vcc_lo
	s_branch .LBB29_16
.LBB29_21:                              ;   in Loop: Header=BB29_10 Depth=1
	s_wait_dscnt 0x1
	ds_bpermute_b32 v15, v0, v13
	s_wait_dscnt 0x1
	ds_bpermute_b32 v16, v0, v14
	s_wait_dscnt 0x0
	v_add_f64_e32 v[13:14], v[13:14], v[15:16]
	ds_bpermute_b32 v15, v23, v13
	ds_bpermute_b32 v16, v23, v14
	s_wait_dscnt 0x0
	v_add_f64_e32 v[13:14], v[13:14], v[15:16]
	ds_bpermute_b32 v15, v24, v13
	;; [unrolled: 4-line block ×4, first 2 shown]
	ds_bpermute_b32 v16, v26, v14
	s_and_saveexec_b32 s3, s2
	s_cbranch_execz .LBB29_9
; %bb.22:                               ;   in Loop: Header=BB29_10 Depth=1
	s_wait_dscnt 0x0
	v_add_f64_e32 v[13:14], v[13:14], v[15:16]
	v_lshlrev_b64_e32 v[15:16], 3, v[5:6]
	s_delay_alu instid0(VALU_DEP_2)
	v_mul_f64_e32 v[13:14], v[1:2], v[13:14]
	s_and_saveexec_b32 s24, s0
	s_wait_alu 0xfffe
	s_xor_b32 s24, exec_lo, s24
	s_cbranch_execz .LBB29_24
; %bb.23:                               ;   in Loop: Header=BB29_10 Depth=1
	v_add_co_u32 v15, vcc_lo, s6, v15
	s_wait_alu 0xfffd
	v_add_co_ci_u32_e64 v16, null, s7, v16, vcc_lo
	global_store_b64 v[15:16], v[13:14], off
                                        ; implicit-def: $vgpr15_vgpr16
                                        ; implicit-def: $vgpr13_vgpr14
.LBB29_24:                              ;   in Loop: Header=BB29_10 Depth=1
	s_wait_alu 0xfffe
	s_and_not1_saveexec_b32 s24, s24
	s_cbranch_execz .LBB29_9
; %bb.25:                               ;   in Loop: Header=BB29_10 Depth=1
	v_add_co_u32 v15, vcc_lo, s6, v15
	s_wait_alu 0xfffd
	v_add_co_ci_u32_e64 v16, null, s7, v16, vcc_lo
	global_load_b64 v[17:18], v[15:16], off
	s_wait_loadcnt 0x0
	v_fma_f64 v[13:14], v[3:4], v[17:18], v[13:14]
	global_store_b64 v[15:16], v[13:14], off
	s_branch .LBB29_9
.LBB29_26:
	s_endpgm
	.section	.rodata,"a",@progbits
	.p2align	6, 0x0
	.amdhsa_kernel _ZN9rocsparseL22bsrxmvn_general_kernelILj1024ELj32EdlldddEEv20rocsparse_direction_NS_24const_host_device_scalarIT1_EET3_PKS5_PKT2_SA_S7_PKT4_S5_PKT5_S4_PT6_21rocsparse_index_base_b
		.amdhsa_group_segment_fixed_size 0
		.amdhsa_private_segment_fixed_size 0
		.amdhsa_kernarg_size 104
		.amdhsa_user_sgpr_count 2
		.amdhsa_user_sgpr_dispatch_ptr 0
		.amdhsa_user_sgpr_queue_ptr 0
		.amdhsa_user_sgpr_kernarg_segment_ptr 1
		.amdhsa_user_sgpr_dispatch_id 0
		.amdhsa_user_sgpr_private_segment_size 0
		.amdhsa_wavefront_size32 1
		.amdhsa_uses_dynamic_stack 0
		.amdhsa_enable_private_segment 0
		.amdhsa_system_sgpr_workgroup_id_x 1
		.amdhsa_system_sgpr_workgroup_id_y 0
		.amdhsa_system_sgpr_workgroup_id_z 0
		.amdhsa_system_sgpr_workgroup_info 0
		.amdhsa_system_vgpr_workitem_id 0
		.amdhsa_next_free_vgpr 29
		.amdhsa_next_free_sgpr 34
		.amdhsa_reserve_vcc 1
		.amdhsa_float_round_mode_32 0
		.amdhsa_float_round_mode_16_64 0
		.amdhsa_float_denorm_mode_32 3
		.amdhsa_float_denorm_mode_16_64 3
		.amdhsa_fp16_overflow 0
		.amdhsa_workgroup_processor_mode 1
		.amdhsa_memory_ordered 1
		.amdhsa_forward_progress 1
		.amdhsa_inst_pref_size 11
		.amdhsa_round_robin_scheduling 0
		.amdhsa_exception_fp_ieee_invalid_op 0
		.amdhsa_exception_fp_denorm_src 0
		.amdhsa_exception_fp_ieee_div_zero 0
		.amdhsa_exception_fp_ieee_overflow 0
		.amdhsa_exception_fp_ieee_underflow 0
		.amdhsa_exception_fp_ieee_inexact 0
		.amdhsa_exception_int_div_zero 0
	.end_amdhsa_kernel
	.section	.text._ZN9rocsparseL22bsrxmvn_general_kernelILj1024ELj32EdlldddEEv20rocsparse_direction_NS_24const_host_device_scalarIT1_EET3_PKS5_PKT2_SA_S7_PKT4_S5_PKT5_S4_PT6_21rocsparse_index_base_b,"axG",@progbits,_ZN9rocsparseL22bsrxmvn_general_kernelILj1024ELj32EdlldddEEv20rocsparse_direction_NS_24const_host_device_scalarIT1_EET3_PKS5_PKT2_SA_S7_PKT4_S5_PKT5_S4_PT6_21rocsparse_index_base_b,comdat
.Lfunc_end29:
	.size	_ZN9rocsparseL22bsrxmvn_general_kernelILj1024ELj32EdlldddEEv20rocsparse_direction_NS_24const_host_device_scalarIT1_EET3_PKS5_PKT2_SA_S7_PKT4_S5_PKT5_S4_PT6_21rocsparse_index_base_b, .Lfunc_end29-_ZN9rocsparseL22bsrxmvn_general_kernelILj1024ELj32EdlldddEEv20rocsparse_direction_NS_24const_host_device_scalarIT1_EET3_PKS5_PKT2_SA_S7_PKT4_S5_PKT5_S4_PT6_21rocsparse_index_base_b
                                        ; -- End function
	.set _ZN9rocsparseL22bsrxmvn_general_kernelILj1024ELj32EdlldddEEv20rocsparse_direction_NS_24const_host_device_scalarIT1_EET3_PKS5_PKT2_SA_S7_PKT4_S5_PKT5_S4_PT6_21rocsparse_index_base_b.num_vgpr, 29
	.set _ZN9rocsparseL22bsrxmvn_general_kernelILj1024ELj32EdlldddEEv20rocsparse_direction_NS_24const_host_device_scalarIT1_EET3_PKS5_PKT2_SA_S7_PKT4_S5_PKT5_S4_PT6_21rocsparse_index_base_b.num_agpr, 0
	.set _ZN9rocsparseL22bsrxmvn_general_kernelILj1024ELj32EdlldddEEv20rocsparse_direction_NS_24const_host_device_scalarIT1_EET3_PKS5_PKT2_SA_S7_PKT4_S5_PKT5_S4_PT6_21rocsparse_index_base_b.numbered_sgpr, 34
	.set _ZN9rocsparseL22bsrxmvn_general_kernelILj1024ELj32EdlldddEEv20rocsparse_direction_NS_24const_host_device_scalarIT1_EET3_PKS5_PKT2_SA_S7_PKT4_S5_PKT5_S4_PT6_21rocsparse_index_base_b.num_named_barrier, 0
	.set _ZN9rocsparseL22bsrxmvn_general_kernelILj1024ELj32EdlldddEEv20rocsparse_direction_NS_24const_host_device_scalarIT1_EET3_PKS5_PKT2_SA_S7_PKT4_S5_PKT5_S4_PT6_21rocsparse_index_base_b.private_seg_size, 0
	.set _ZN9rocsparseL22bsrxmvn_general_kernelILj1024ELj32EdlldddEEv20rocsparse_direction_NS_24const_host_device_scalarIT1_EET3_PKS5_PKT2_SA_S7_PKT4_S5_PKT5_S4_PT6_21rocsparse_index_base_b.uses_vcc, 1
	.set _ZN9rocsparseL22bsrxmvn_general_kernelILj1024ELj32EdlldddEEv20rocsparse_direction_NS_24const_host_device_scalarIT1_EET3_PKS5_PKT2_SA_S7_PKT4_S5_PKT5_S4_PT6_21rocsparse_index_base_b.uses_flat_scratch, 0
	.set _ZN9rocsparseL22bsrxmvn_general_kernelILj1024ELj32EdlldddEEv20rocsparse_direction_NS_24const_host_device_scalarIT1_EET3_PKS5_PKT2_SA_S7_PKT4_S5_PKT5_S4_PT6_21rocsparse_index_base_b.has_dyn_sized_stack, 0
	.set _ZN9rocsparseL22bsrxmvn_general_kernelILj1024ELj32EdlldddEEv20rocsparse_direction_NS_24const_host_device_scalarIT1_EET3_PKS5_PKT2_SA_S7_PKT4_S5_PKT5_S4_PT6_21rocsparse_index_base_b.has_recursion, 0
	.set _ZN9rocsparseL22bsrxmvn_general_kernelILj1024ELj32EdlldddEEv20rocsparse_direction_NS_24const_host_device_scalarIT1_EET3_PKS5_PKT2_SA_S7_PKT4_S5_PKT5_S4_PT6_21rocsparse_index_base_b.has_indirect_call, 0
	.section	.AMDGPU.csdata,"",@progbits
; Kernel info:
; codeLenInByte = 1404
; TotalNumSgprs: 36
; NumVgprs: 29
; ScratchSize: 0
; MemoryBound: 0
; FloatMode: 240
; IeeeMode: 1
; LDSByteSize: 0 bytes/workgroup (compile time only)
; SGPRBlocks: 0
; VGPRBlocks: 3
; NumSGPRsForWavesPerEU: 36
; NumVGPRsForWavesPerEU: 29
; Occupancy: 16
; WaveLimiterHint : 1
; COMPUTE_PGM_RSRC2:SCRATCH_EN: 0
; COMPUTE_PGM_RSRC2:USER_SGPR: 2
; COMPUTE_PGM_RSRC2:TRAP_HANDLER: 0
; COMPUTE_PGM_RSRC2:TGID_X_EN: 1
; COMPUTE_PGM_RSRC2:TGID_Y_EN: 0
; COMPUTE_PGM_RSRC2:TGID_Z_EN: 0
; COMPUTE_PGM_RSRC2:TIDIG_COMP_CNT: 0
	.section	.text._ZN9rocsparseL22bsrxmvn_general_kernelILj64ELj8E21rocsparse_complex_numIfEllS2_S2_S2_EEv20rocsparse_direction_NS_24const_host_device_scalarIT1_EET3_PKS7_PKT2_SC_S9_PKT4_S7_PKT5_S6_PT6_21rocsparse_index_base_b,"axG",@progbits,_ZN9rocsparseL22bsrxmvn_general_kernelILj64ELj8E21rocsparse_complex_numIfEllS2_S2_S2_EEv20rocsparse_direction_NS_24const_host_device_scalarIT1_EET3_PKS7_PKT2_SC_S9_PKT4_S7_PKT5_S6_PT6_21rocsparse_index_base_b,comdat
	.globl	_ZN9rocsparseL22bsrxmvn_general_kernelILj64ELj8E21rocsparse_complex_numIfEllS2_S2_S2_EEv20rocsparse_direction_NS_24const_host_device_scalarIT1_EET3_PKS7_PKT2_SC_S9_PKT4_S7_PKT5_S6_PT6_21rocsparse_index_base_b ; -- Begin function _ZN9rocsparseL22bsrxmvn_general_kernelILj64ELj8E21rocsparse_complex_numIfEllS2_S2_S2_EEv20rocsparse_direction_NS_24const_host_device_scalarIT1_EET3_PKS7_PKT2_SC_S9_PKT4_S7_PKT5_S6_PT6_21rocsparse_index_base_b
	.p2align	8
	.type	_ZN9rocsparseL22bsrxmvn_general_kernelILj64ELj8E21rocsparse_complex_numIfEllS2_S2_S2_EEv20rocsparse_direction_NS_24const_host_device_scalarIT1_EET3_PKS7_PKT2_SC_S9_PKT4_S7_PKT5_S6_PT6_21rocsparse_index_base_b,@function
_ZN9rocsparseL22bsrxmvn_general_kernelILj64ELj8E21rocsparse_complex_numIfEllS2_S2_S2_EEv20rocsparse_direction_NS_24const_host_device_scalarIT1_EET3_PKS7_PKT2_SC_S9_PKT4_S7_PKT5_S6_PT6_21rocsparse_index_base_b: ; @_ZN9rocsparseL22bsrxmvn_general_kernelILj64ELj8E21rocsparse_complex_numIfEllS2_S2_S2_EEv20rocsparse_direction_NS_24const_host_device_scalarIT1_EET3_PKS7_PKT2_SC_S9_PKT4_S7_PKT5_S6_PT6_21rocsparse_index_base_b
; %bb.0:
	s_clause 0x2
	s_load_b64 s[12:13], s[0:1], 0x60
	s_load_b64 s[2:3], s[0:1], 0x8
	;; [unrolled: 1-line block ×3, first 2 shown]
	s_add_nc_u64 s[6:7], s[0:1], 8
	s_wait_kmcnt 0x0
	s_bitcmp1_b32 s13, 0
	s_cselect_b32 s2, s6, s2
	s_cselect_b32 s3, s7, s3
	s_delay_alu instid0(SALU_CYCLE_1)
	v_dual_mov_b32 v1, s2 :: v_dual_mov_b32 v2, s3
	s_add_nc_u64 s[2:3], s[0:1], 0x50
	s_wait_alu 0xfffe
	s_cselect_b32 s2, s2, s4
	s_cselect_b32 s3, s3, s5
	flat_load_b64 v[1:2], v[1:2]
	s_wait_alu 0xfffe
	v_dual_mov_b32 v3, s2 :: v_dual_mov_b32 v4, s3
	flat_load_b64 v[3:4], v[3:4]
	s_wait_loadcnt_dscnt 0x101
	v_cmp_eq_f32_e32 vcc_lo, 0, v1
	v_cmp_eq_f32_e64 s2, 0, v2
	s_and_b32 s4, vcc_lo, s2
	s_mov_b32 s2, -1
	s_and_saveexec_b32 s3, s4
	s_cbranch_execz .LBB30_2
; %bb.1:
	s_wait_loadcnt_dscnt 0x0
	v_cmp_neq_f32_e32 vcc_lo, 1.0, v3
	v_cmp_neq_f32_e64 s2, 0, v4
	s_wait_alu 0xfffe
	s_or_b32 s2, vcc_lo, s2
	s_wait_alu 0xfffe
	s_or_not1_b32 s2, s2, exec_lo
.LBB30_2:
	s_wait_alu 0xfffe
	s_or_b32 exec_lo, exec_lo, s3
	s_and_saveexec_b32 s3, s2
	s_cbranch_execz .LBB30_24
; %bb.3:
	s_load_b64 s[2:3], s[0:1], 0x18
	s_mov_b32 s17, 0
	s_mov_b32 s16, ttmp9
	s_mov_b32 s13, s17
	s_wait_kmcnt 0x0
	s_cmp_eq_u64 s[2:3], 0
	s_cbranch_scc1 .LBB30_5
; %bb.4:
	s_lshl_b64 s[4:5], s[16:17], 3
	s_delay_alu instid0(SALU_CYCLE_1)
	s_add_nc_u64 s[2:3], s[2:3], s[4:5]
	s_load_b64 s[2:3], s[2:3], 0x0
	s_wait_kmcnt 0x0
	s_sub_nc_u64 s[16:17], s[2:3], s[12:13]
.LBB30_5:
	s_load_b64 s[14:15], s[0:1], 0x40
	v_lshrrev_b32_e32 v5, 3, v0
	v_mov_b32_e32 v6, 0
	s_wait_kmcnt 0x0
	s_delay_alu instid0(VALU_DEP_1)
	v_cmp_gt_i64_e32 vcc_lo, s[14:15], v[5:6]
	s_and_b32 exec_lo, exec_lo, vcc_lo
	s_cbranch_execz .LBB30_24
; %bb.6:
	s_clause 0x2
	s_load_b256 s[4:11], s[0:1], 0x20
	s_load_b64 s[18:19], s[0:1], 0x48
	s_load_b64 s[20:21], s[0:1], 0x58
	s_lshl_b64 s[22:23], s[16:17], 3
	v_dual_mov_b32 v8, v6 :: v_dual_and_b32 v7, 7, v0
	v_mbcnt_lo_u32_b32 v0, -1, 0
	s_load_b32 s27, s[0:1], 0x0
	s_wait_loadcnt_dscnt 0x0
	v_cmp_eq_f32_e32 vcc_lo, 0, v3
	v_lshlrev_b32_e32 v12, 3, v7
	v_cmp_eq_f32_e64 s2, 0, v4
	v_xor_b32_e32 v9, 4, v0
	v_xor_b32_e32 v10, 2, v0
	;; [unrolled: 1-line block ×3, first 2 shown]
	s_mul_u64 s[16:17], s[16:17], s[14:15]
	v_cmp_gt_u64_e64 s0, s[14:15], v[7:8]
	v_cmp_gt_i32_e64 s3, 32, v9
	v_cmp_eq_u32_e64 s1, 7, v7
	s_mov_b32 s26, 0
	s_wait_kmcnt 0x0
	s_add_nc_u64 s[4:5], s[4:5], s[22:23]
	s_wait_alu 0xf1ff
	v_cndmask_b32_e64 v9, v0, v9, s3
	s_load_b64 s[24:25], s[4:5], 0x0
	v_cmp_gt_i32_e64 s3, 32, v10
	s_add_nc_u64 s[22:23], s[6:7], s[22:23]
	s_cmp_eq_u64 s[6:7], 0
	s_add_nc_u64 s[4:5], s[4:5], 8
	s_wait_alu 0xf1ff
	v_cndmask_b32_e64 v10, v0, v10, s3
	v_cmp_gt_i32_e64 s3, 32, v11
	s_cselect_b32 s7, s5, s23
	s_cselect_b32 s6, s4, s22
	s_cmp_lg_u32 s27, 0
	v_lshlrev_b32_e32 v21, 2, v10
	s_wait_alu 0xf1ff
	v_cndmask_b32_e64 v11, v0, v11, s3
	v_lshlrev_b32_e32 v0, 2, v9
	s_load_b64 s[22:23], s[6:7], 0x0
	s_delay_alu instid0(VALU_DEP_2)
	v_lshlrev_b32_e32 v22, 2, v11
	v_add_co_u32 v11, s7, s18, v12
	s_wait_kmcnt 0x0
	s_sub_nc_u64 s[4:5], s[24:25], s[12:13]
	v_add_co_ci_u32_e64 v12, null, s19, 0, s7
	v_mad_co_u64_u32 v[9:10], null, s14, s4, v[5:6]
	s_mul_i32 s3, s15, s4
	s_mul_i32 s6, s14, s5
	s_wait_alu 0xfffe
	v_add3_u32 v13, s6, s3, v10
	v_mul_lo_u32 v14, s15, v9
	v_mad_co_u64_u32 v[9:10], null, s14, v9, 0
	v_add_co_u32 v11, s3, v11, 4
	s_delay_alu instid0(VALU_DEP_4)
	v_mul_lo_u32 v13, s14, v13
	v_cmp_lt_i64_e64 s28, s[24:25], s[22:23]
	s_wait_alu 0xf1ff
	v_add_co_ci_u32_e64 v12, null, 0, v12, s3
	s_cselect_b32 s3, -1, 0
	s_lshl_b64 s[16:17], s[16:17], 3
	s_and_b32 s27, vcc_lo, s2
	s_sub_nc_u64 s[6:7], s[22:23], s[12:13]
	v_add3_u32 v10, v10, v13, v14
	s_add_nc_u64 s[16:17], s[20:21], s[16:17]
	s_lshl_b64 s[18:19], s[14:15], 3
	s_mul_u64 s[20:21], s[14:15], s[14:15]
	s_branch .LBB30_8
.LBB30_7:                               ;   in Loop: Header=BB30_8 Depth=1
	s_wait_alu 0xfffe
	s_or_b32 exec_lo, exec_lo, s2
	v_add_co_u32 v5, vcc_lo, v5, 8
	s_wait_alu 0xfffd
	v_add_co_ci_u32_e64 v6, null, 0, v6, vcc_lo
	v_add_co_u32 v9, s2, v9, s18
	s_wait_alu 0xf1ff
	v_add_co_ci_u32_e64 v10, null, s19, v10, s2
	s_delay_alu instid0(VALU_DEP_3) | instskip(SKIP_1) | instid1(SALU_CYCLE_1)
	v_cmp_le_i64_e32 vcc_lo, s[14:15], v[5:6]
	s_or_b32 s26, vcc_lo, s26
	s_and_not1_b32 exec_lo, exec_lo, s26
	s_cbranch_execz .LBB30_24
.LBB30_8:                               ; =>This Loop Header: Depth=1
                                        ;     Child Loop BB30_12 Depth 2
                                        ;       Child Loop BB30_15 Depth 3
	v_dual_mov_b32 v23, 0 :: v_dual_mov_b32 v24, 0
	s_and_not1_b32 vcc_lo, exec_lo, s28
	s_wait_alu 0xfffe
	s_cbranch_vccnz .LBB30_19
; %bb.9:                                ;   in Loop: Header=BB30_8 Depth=1
	s_wait_dscnt 0x1
	v_dual_mov_b32 v23, 0 :: v_dual_mov_b32 v14, v10
	v_dual_mov_b32 v13, v9 :: v_dual_mov_b32 v24, 0
	s_mov_b64 s[22:23], s[4:5]
	s_branch .LBB30_12
.LBB30_10:                              ;   in Loop: Header=BB30_12 Depth=2
	s_or_b32 exec_lo, exec_lo, s30
.LBB30_11:                              ;   in Loop: Header=BB30_12 Depth=2
	s_delay_alu instid0(SALU_CYCLE_1)
	s_or_b32 exec_lo, exec_lo, s29
	s_wait_alu 0xfffe
	s_add_nc_u64 s[22:23], s[22:23], 1
	v_add_co_u32 v13, vcc_lo, v13, s20
	s_wait_alu 0xfffe
	v_cmp_ge_i64_e64 s2, s[22:23], s[6:7]
	s_wait_alu 0xfffd
	v_add_co_ci_u32_e64 v14, null, s21, v14, vcc_lo
	s_and_b32 vcc_lo, exec_lo, s2
	s_wait_alu 0xfffe
	s_cbranch_vccnz .LBB30_19
.LBB30_12:                              ;   Parent Loop BB30_8 Depth=1
                                        ; =>  This Loop Header: Depth=2
                                        ;       Child Loop BB30_15 Depth 3
	s_and_saveexec_b32 s29, s0
	s_cbranch_execz .LBB30_11
; %bb.13:                               ;   in Loop: Header=BB30_12 Depth=2
	s_wait_alu 0xfffe
	s_lshl_b64 s[24:25], s[22:23], 3
	v_dual_mov_b32 v18, v8 :: v_dual_mov_b32 v17, v7
	s_wait_alu 0xfffe
	s_add_nc_u64 s[24:25], s[8:9], s[24:25]
	s_mov_b32 s30, 0
	s_load_b64 s[24:25], s[24:25], 0x0
	s_wait_kmcnt 0x0
	s_sub_nc_u64 s[24:25], s[24:25], s[12:13]
	s_wait_dscnt 0x0
	s_wait_alu 0xfffe
	v_mad_co_u64_u32 v[15:16], null, s18, s24, v[11:12]
	s_mul_i32 s2, s19, s24
	s_mul_i32 s24, s18, s25
	s_wait_alu 0xfffe
	v_add3_u32 v16, s24, s2, v16
	s_mul_u64 s[24:25], s[22:23], s[14:15]
	s_branch .LBB30_15
.LBB30_14:                              ;   in Loop: Header=BB30_15 Depth=3
	s_delay_alu instid0(VALU_DEP_1) | instskip(NEXT) | instid1(VALU_DEP_1)
	v_lshlrev_b64_e32 v[19:20], 3, v[19:20]
	v_add_co_u32 v19, vcc_lo, s10, v19
	s_wait_alu 0xfffd
	s_delay_alu instid0(VALU_DEP_2)
	v_add_co_ci_u32_e64 v20, null, s11, v20, vcc_lo
	v_add_co_u32 v17, vcc_lo, v17, 8
	global_load_b64 v[25:26], v[15:16], off offset:-4
	global_load_b64 v[19:20], v[19:20], off
	s_wait_alu 0xfffd
	v_add_co_ci_u32_e64 v18, null, 0, v18, vcc_lo
	v_add_co_u32 v15, s2, v15, 64
	s_wait_alu 0xf1ff
	v_add_co_ci_u32_e64 v16, null, 0, v16, s2
	s_delay_alu instid0(VALU_DEP_3) | instskip(SKIP_4) | instid1(VALU_DEP_2)
	v_cmp_le_i64_e32 vcc_lo, s[14:15], v[17:18]
	s_or_b32 s30, vcc_lo, s30
	s_wait_loadcnt 0x0
	v_fmac_f32_e32 v24, v19, v25
	v_fmac_f32_e32 v23, v20, v25
	v_fma_f32 v24, -v20, v26, v24
	s_delay_alu instid0(VALU_DEP_2)
	v_fmac_f32_e32 v23, v19, v26
	s_and_not1_b32 exec_lo, exec_lo, s30
	s_cbranch_execz .LBB30_10
.LBB30_15:                              ;   Parent Loop BB30_8 Depth=1
                                        ;     Parent Loop BB30_12 Depth=2
                                        ; =>    This Inner Loop Header: Depth=3
	s_and_b32 vcc_lo, exec_lo, s3
	s_wait_alu 0xfffe
	s_cbranch_vccz .LBB30_17
; %bb.16:                               ;   in Loop: Header=BB30_15 Depth=3
	v_add_co_u32 v19, vcc_lo, v17, s24
	s_wait_alu 0xfffd
	v_add_co_ci_u32_e64 v20, null, s25, v18, vcc_lo
	s_delay_alu instid0(VALU_DEP_2) | instskip(NEXT) | instid1(VALU_DEP_2)
	v_mul_lo_u32 v25, v19, s15
	v_mul_lo_u32 v26, v20, s14
	v_mad_co_u64_u32 v[19:20], null, v19, s14, v[5:6]
	s_delay_alu instid0(VALU_DEP_1)
	v_add3_u32 v20, v26, v20, v25
	s_cbranch_execnz .LBB30_14
	s_branch .LBB30_18
.LBB30_17:                              ;   in Loop: Header=BB30_15 Depth=3
                                        ; implicit-def: $vgpr19_vgpr20
.LBB30_18:                              ;   in Loop: Header=BB30_15 Depth=3
	v_add_co_u32 v19, vcc_lo, v13, v17
	s_wait_alu 0xfffd
	v_add_co_ci_u32_e64 v20, null, v14, v18, vcc_lo
	s_branch .LBB30_14
.LBB30_19:                              ;   in Loop: Header=BB30_8 Depth=1
	ds_bpermute_b32 v13, v0, v24
	s_wait_dscnt 0x2
	ds_bpermute_b32 v14, v0, v23
	s_wait_dscnt 0x0
	v_dual_add_f32 v13, v24, v13 :: v_dual_add_f32 v14, v23, v14
	ds_bpermute_b32 v15, v21, v13
	ds_bpermute_b32 v16, v21, v14
	s_wait_dscnt 0x1
	v_add_f32_e32 v13, v13, v15
	s_wait_dscnt 0x0
	v_add_f32_e32 v15, v14, v16
	ds_bpermute_b32 v14, v22, v13
	ds_bpermute_b32 v16, v22, v15
	s_and_saveexec_b32 s2, s1
	s_cbranch_execz .LBB30_7
; %bb.20:                               ;   in Loop: Header=BB30_8 Depth=1
	s_wait_dscnt 0x1
	v_add_f32_e32 v17, v13, v14
	s_wait_dscnt 0x0
	v_add_f32_e32 v15, v15, v16
	s_delay_alu instid0(VALU_DEP_1) | instskip(NEXT) | instid1(VALU_DEP_1)
	v_mul_f32_e32 v14, v1, v15
	v_fmac_f32_e32 v14, v2, v17
	v_mul_f32_e64 v13, v15, -v2
	v_lshlrev_b64_e32 v[15:16], 3, v[5:6]
	s_delay_alu instid0(VALU_DEP_2)
	v_fmac_f32_e32 v13, v1, v17
	s_and_saveexec_b32 s22, s27
	s_wait_alu 0xfffe
	s_xor_b32 s22, exec_lo, s22
	s_cbranch_execz .LBB30_22
; %bb.21:                               ;   in Loop: Header=BB30_8 Depth=1
	v_add_co_u32 v15, vcc_lo, s16, v15
	s_wait_alu 0xfffd
	v_add_co_ci_u32_e64 v16, null, s17, v16, vcc_lo
	global_store_b64 v[15:16], v[13:14], off
                                        ; implicit-def: $vgpr15_vgpr16
                                        ; implicit-def: $vgpr13
.LBB30_22:                              ;   in Loop: Header=BB30_8 Depth=1
	s_wait_alu 0xfffe
	s_and_not1_saveexec_b32 s22, s22
	s_cbranch_execz .LBB30_7
; %bb.23:                               ;   in Loop: Header=BB30_8 Depth=1
	v_add_co_u32 v15, vcc_lo, s16, v15
	s_wait_alu 0xfffd
	v_add_co_ci_u32_e64 v16, null, s17, v16, vcc_lo
	global_load_b64 v[17:18], v[15:16], off
	s_wait_loadcnt 0x0
	v_fmac_f32_e32 v13, v3, v17
	v_fmac_f32_e32 v14, v4, v17
	s_delay_alu instid0(VALU_DEP_2) | instskip(NEXT) | instid1(VALU_DEP_2)
	v_fma_f32 v13, -v4, v18, v13
	v_fmac_f32_e32 v14, v3, v18
	global_store_b64 v[15:16], v[13:14], off
	s_branch .LBB30_7
.LBB30_24:
	s_endpgm
	.section	.rodata,"a",@progbits
	.p2align	6, 0x0
	.amdhsa_kernel _ZN9rocsparseL22bsrxmvn_general_kernelILj64ELj8E21rocsparse_complex_numIfEllS2_S2_S2_EEv20rocsparse_direction_NS_24const_host_device_scalarIT1_EET3_PKS7_PKT2_SC_S9_PKT4_S7_PKT5_S6_PT6_21rocsparse_index_base_b
		.amdhsa_group_segment_fixed_size 0
		.amdhsa_private_segment_fixed_size 0
		.amdhsa_kernarg_size 104
		.amdhsa_user_sgpr_count 2
		.amdhsa_user_sgpr_dispatch_ptr 0
		.amdhsa_user_sgpr_queue_ptr 0
		.amdhsa_user_sgpr_kernarg_segment_ptr 1
		.amdhsa_user_sgpr_dispatch_id 0
		.amdhsa_user_sgpr_private_segment_size 0
		.amdhsa_wavefront_size32 1
		.amdhsa_uses_dynamic_stack 0
		.amdhsa_enable_private_segment 0
		.amdhsa_system_sgpr_workgroup_id_x 1
		.amdhsa_system_sgpr_workgroup_id_y 0
		.amdhsa_system_sgpr_workgroup_id_z 0
		.amdhsa_system_sgpr_workgroup_info 0
		.amdhsa_system_vgpr_workitem_id 0
		.amdhsa_next_free_vgpr 27
		.amdhsa_next_free_sgpr 31
		.amdhsa_reserve_vcc 1
		.amdhsa_float_round_mode_32 0
		.amdhsa_float_round_mode_16_64 0
		.amdhsa_float_denorm_mode_32 3
		.amdhsa_float_denorm_mode_16_64 3
		.amdhsa_fp16_overflow 0
		.amdhsa_workgroup_processor_mode 1
		.amdhsa_memory_ordered 1
		.amdhsa_forward_progress 1
		.amdhsa_inst_pref_size 12
		.amdhsa_round_robin_scheduling 0
		.amdhsa_exception_fp_ieee_invalid_op 0
		.amdhsa_exception_fp_denorm_src 0
		.amdhsa_exception_fp_ieee_div_zero 0
		.amdhsa_exception_fp_ieee_overflow 0
		.amdhsa_exception_fp_ieee_underflow 0
		.amdhsa_exception_fp_ieee_inexact 0
		.amdhsa_exception_int_div_zero 0
	.end_amdhsa_kernel
	.section	.text._ZN9rocsparseL22bsrxmvn_general_kernelILj64ELj8E21rocsparse_complex_numIfEllS2_S2_S2_EEv20rocsparse_direction_NS_24const_host_device_scalarIT1_EET3_PKS7_PKT2_SC_S9_PKT4_S7_PKT5_S6_PT6_21rocsparse_index_base_b,"axG",@progbits,_ZN9rocsparseL22bsrxmvn_general_kernelILj64ELj8E21rocsparse_complex_numIfEllS2_S2_S2_EEv20rocsparse_direction_NS_24const_host_device_scalarIT1_EET3_PKS7_PKT2_SC_S9_PKT4_S7_PKT5_S6_PT6_21rocsparse_index_base_b,comdat
.Lfunc_end30:
	.size	_ZN9rocsparseL22bsrxmvn_general_kernelILj64ELj8E21rocsparse_complex_numIfEllS2_S2_S2_EEv20rocsparse_direction_NS_24const_host_device_scalarIT1_EET3_PKS7_PKT2_SC_S9_PKT4_S7_PKT5_S6_PT6_21rocsparse_index_base_b, .Lfunc_end30-_ZN9rocsparseL22bsrxmvn_general_kernelILj64ELj8E21rocsparse_complex_numIfEllS2_S2_S2_EEv20rocsparse_direction_NS_24const_host_device_scalarIT1_EET3_PKS7_PKT2_SC_S9_PKT4_S7_PKT5_S6_PT6_21rocsparse_index_base_b
                                        ; -- End function
	.set _ZN9rocsparseL22bsrxmvn_general_kernelILj64ELj8E21rocsparse_complex_numIfEllS2_S2_S2_EEv20rocsparse_direction_NS_24const_host_device_scalarIT1_EET3_PKS7_PKT2_SC_S9_PKT4_S7_PKT5_S6_PT6_21rocsparse_index_base_b.num_vgpr, 27
	.set _ZN9rocsparseL22bsrxmvn_general_kernelILj64ELj8E21rocsparse_complex_numIfEllS2_S2_S2_EEv20rocsparse_direction_NS_24const_host_device_scalarIT1_EET3_PKS7_PKT2_SC_S9_PKT4_S7_PKT5_S6_PT6_21rocsparse_index_base_b.num_agpr, 0
	.set _ZN9rocsparseL22bsrxmvn_general_kernelILj64ELj8E21rocsparse_complex_numIfEllS2_S2_S2_EEv20rocsparse_direction_NS_24const_host_device_scalarIT1_EET3_PKS7_PKT2_SC_S9_PKT4_S7_PKT5_S6_PT6_21rocsparse_index_base_b.numbered_sgpr, 31
	.set _ZN9rocsparseL22bsrxmvn_general_kernelILj64ELj8E21rocsparse_complex_numIfEllS2_S2_S2_EEv20rocsparse_direction_NS_24const_host_device_scalarIT1_EET3_PKS7_PKT2_SC_S9_PKT4_S7_PKT5_S6_PT6_21rocsparse_index_base_b.num_named_barrier, 0
	.set _ZN9rocsparseL22bsrxmvn_general_kernelILj64ELj8E21rocsparse_complex_numIfEllS2_S2_S2_EEv20rocsparse_direction_NS_24const_host_device_scalarIT1_EET3_PKS7_PKT2_SC_S9_PKT4_S7_PKT5_S6_PT6_21rocsparse_index_base_b.private_seg_size, 0
	.set _ZN9rocsparseL22bsrxmvn_general_kernelILj64ELj8E21rocsparse_complex_numIfEllS2_S2_S2_EEv20rocsparse_direction_NS_24const_host_device_scalarIT1_EET3_PKS7_PKT2_SC_S9_PKT4_S7_PKT5_S6_PT6_21rocsparse_index_base_b.uses_vcc, 1
	.set _ZN9rocsparseL22bsrxmvn_general_kernelILj64ELj8E21rocsparse_complex_numIfEllS2_S2_S2_EEv20rocsparse_direction_NS_24const_host_device_scalarIT1_EET3_PKS7_PKT2_SC_S9_PKT4_S7_PKT5_S6_PT6_21rocsparse_index_base_b.uses_flat_scratch, 0
	.set _ZN9rocsparseL22bsrxmvn_general_kernelILj64ELj8E21rocsparse_complex_numIfEllS2_S2_S2_EEv20rocsparse_direction_NS_24const_host_device_scalarIT1_EET3_PKS7_PKT2_SC_S9_PKT4_S7_PKT5_S6_PT6_21rocsparse_index_base_b.has_dyn_sized_stack, 0
	.set _ZN9rocsparseL22bsrxmvn_general_kernelILj64ELj8E21rocsparse_complex_numIfEllS2_S2_S2_EEv20rocsparse_direction_NS_24const_host_device_scalarIT1_EET3_PKS7_PKT2_SC_S9_PKT4_S7_PKT5_S6_PT6_21rocsparse_index_base_b.has_recursion, 0
	.set _ZN9rocsparseL22bsrxmvn_general_kernelILj64ELj8E21rocsparse_complex_numIfEllS2_S2_S2_EEv20rocsparse_direction_NS_24const_host_device_scalarIT1_EET3_PKS7_PKT2_SC_S9_PKT4_S7_PKT5_S6_PT6_21rocsparse_index_base_b.has_indirect_call, 0
	.section	.AMDGPU.csdata,"",@progbits
; Kernel info:
; codeLenInByte = 1476
; TotalNumSgprs: 33
; NumVgprs: 27
; ScratchSize: 0
; MemoryBound: 0
; FloatMode: 240
; IeeeMode: 1
; LDSByteSize: 0 bytes/workgroup (compile time only)
; SGPRBlocks: 0
; VGPRBlocks: 3
; NumSGPRsForWavesPerEU: 33
; NumVGPRsForWavesPerEU: 27
; Occupancy: 16
; WaveLimiterHint : 0
; COMPUTE_PGM_RSRC2:SCRATCH_EN: 0
; COMPUTE_PGM_RSRC2:USER_SGPR: 2
; COMPUTE_PGM_RSRC2:TRAP_HANDLER: 0
; COMPUTE_PGM_RSRC2:TGID_X_EN: 1
; COMPUTE_PGM_RSRC2:TGID_Y_EN: 0
; COMPUTE_PGM_RSRC2:TGID_Z_EN: 0
; COMPUTE_PGM_RSRC2:TIDIG_COMP_CNT: 0
	.section	.text._ZN9rocsparseL22bsrxmvn_general_kernelILj256ELj16E21rocsparse_complex_numIfEllS2_S2_S2_EEv20rocsparse_direction_NS_24const_host_device_scalarIT1_EET3_PKS7_PKT2_SC_S9_PKT4_S7_PKT5_S6_PT6_21rocsparse_index_base_b,"axG",@progbits,_ZN9rocsparseL22bsrxmvn_general_kernelILj256ELj16E21rocsparse_complex_numIfEllS2_S2_S2_EEv20rocsparse_direction_NS_24const_host_device_scalarIT1_EET3_PKS7_PKT2_SC_S9_PKT4_S7_PKT5_S6_PT6_21rocsparse_index_base_b,comdat
	.globl	_ZN9rocsparseL22bsrxmvn_general_kernelILj256ELj16E21rocsparse_complex_numIfEllS2_S2_S2_EEv20rocsparse_direction_NS_24const_host_device_scalarIT1_EET3_PKS7_PKT2_SC_S9_PKT4_S7_PKT5_S6_PT6_21rocsparse_index_base_b ; -- Begin function _ZN9rocsparseL22bsrxmvn_general_kernelILj256ELj16E21rocsparse_complex_numIfEllS2_S2_S2_EEv20rocsparse_direction_NS_24const_host_device_scalarIT1_EET3_PKS7_PKT2_SC_S9_PKT4_S7_PKT5_S6_PT6_21rocsparse_index_base_b
	.p2align	8
	.type	_ZN9rocsparseL22bsrxmvn_general_kernelILj256ELj16E21rocsparse_complex_numIfEllS2_S2_S2_EEv20rocsparse_direction_NS_24const_host_device_scalarIT1_EET3_PKS7_PKT2_SC_S9_PKT4_S7_PKT5_S6_PT6_21rocsparse_index_base_b,@function
_ZN9rocsparseL22bsrxmvn_general_kernelILj256ELj16E21rocsparse_complex_numIfEllS2_S2_S2_EEv20rocsparse_direction_NS_24const_host_device_scalarIT1_EET3_PKS7_PKT2_SC_S9_PKT4_S7_PKT5_S6_PT6_21rocsparse_index_base_b: ; @_ZN9rocsparseL22bsrxmvn_general_kernelILj256ELj16E21rocsparse_complex_numIfEllS2_S2_S2_EEv20rocsparse_direction_NS_24const_host_device_scalarIT1_EET3_PKS7_PKT2_SC_S9_PKT4_S7_PKT5_S6_PT6_21rocsparse_index_base_b
; %bb.0:
	s_clause 0x2
	s_load_b64 s[12:13], s[0:1], 0x60
	s_load_b64 s[2:3], s[0:1], 0x8
	;; [unrolled: 1-line block ×3, first 2 shown]
	s_add_nc_u64 s[6:7], s[0:1], 8
	s_wait_kmcnt 0x0
	s_bitcmp1_b32 s13, 0
	s_cselect_b32 s2, s6, s2
	s_cselect_b32 s3, s7, s3
	s_delay_alu instid0(SALU_CYCLE_1)
	v_dual_mov_b32 v1, s2 :: v_dual_mov_b32 v2, s3
	s_add_nc_u64 s[2:3], s[0:1], 0x50
	s_wait_alu 0xfffe
	s_cselect_b32 s2, s2, s4
	s_cselect_b32 s3, s3, s5
	flat_load_b64 v[1:2], v[1:2]
	s_wait_alu 0xfffe
	v_dual_mov_b32 v3, s2 :: v_dual_mov_b32 v4, s3
	flat_load_b64 v[3:4], v[3:4]
	s_wait_loadcnt_dscnt 0x101
	v_cmp_eq_f32_e32 vcc_lo, 0, v1
	v_cmp_eq_f32_e64 s2, 0, v2
	s_and_b32 s4, vcc_lo, s2
	s_mov_b32 s2, -1
	s_and_saveexec_b32 s3, s4
	s_cbranch_execz .LBB31_2
; %bb.1:
	s_wait_loadcnt_dscnt 0x0
	v_cmp_neq_f32_e32 vcc_lo, 1.0, v3
	v_cmp_neq_f32_e64 s2, 0, v4
	s_wait_alu 0xfffe
	s_or_b32 s2, vcc_lo, s2
	s_wait_alu 0xfffe
	s_or_not1_b32 s2, s2, exec_lo
.LBB31_2:
	s_wait_alu 0xfffe
	s_or_b32 exec_lo, exec_lo, s3
	s_and_saveexec_b32 s3, s2
	s_cbranch_execz .LBB31_24
; %bb.3:
	s_load_b64 s[2:3], s[0:1], 0x18
	s_mov_b32 s17, 0
	s_mov_b32 s16, ttmp9
	s_mov_b32 s13, s17
	s_wait_kmcnt 0x0
	s_cmp_eq_u64 s[2:3], 0
	s_cbranch_scc1 .LBB31_5
; %bb.4:
	s_lshl_b64 s[4:5], s[16:17], 3
	s_delay_alu instid0(SALU_CYCLE_1)
	s_add_nc_u64 s[2:3], s[2:3], s[4:5]
	s_load_b64 s[2:3], s[2:3], 0x0
	s_wait_kmcnt 0x0
	s_sub_nc_u64 s[16:17], s[2:3], s[12:13]
.LBB31_5:
	s_load_b64 s[14:15], s[0:1], 0x40
	v_lshrrev_b32_e32 v5, 4, v0
	v_mov_b32_e32 v6, 0
	s_wait_kmcnt 0x0
	s_delay_alu instid0(VALU_DEP_1)
	v_cmp_gt_i64_e32 vcc_lo, s[14:15], v[5:6]
	s_and_b32 exec_lo, exec_lo, vcc_lo
	s_cbranch_execz .LBB31_24
; %bb.6:
	s_clause 0x2
	s_load_b256 s[4:11], s[0:1], 0x20
	s_load_b64 s[18:19], s[0:1], 0x48
	s_load_b64 s[20:21], s[0:1], 0x58
	v_dual_mov_b32 v8, v6 :: v_dual_and_b32 v7, 15, v0
	v_mbcnt_lo_u32_b32 v0, -1, 0
	s_lshl_b64 s[22:23], s[16:17], 3
	s_load_b32 s26, s[0:1], 0x0
	s_delay_alu instid0(VALU_DEP_2)
	v_lshlrev_b32_e32 v13, 3, v7
	s_wait_loadcnt_dscnt 0x0
	v_cmp_eq_f32_e32 vcc_lo, 0, v3
	v_xor_b32_e32 v9, 8, v0
	v_xor_b32_e32 v10, 4, v0
	;; [unrolled: 1-line block ×4, first 2 shown]
	v_cmp_eq_f32_e64 s2, 0, v4
	v_cmp_gt_i32_e64 s3, 32, v9
	s_mul_u64 s[16:17], s[16:17], s[14:15]
	v_cmp_gt_u64_e64 s0, s[14:15], v[7:8]
	v_cmp_eq_u32_e64 s1, 15, v7
	s_mov_b32 s28, 0
	s_wait_kmcnt 0x0
	s_add_nc_u64 s[4:5], s[4:5], s[22:23]
	v_cndmask_b32_e64 v9, v0, v9, s3
	s_load_b64 s[24:25], s[4:5], 0x0
	v_cmp_gt_i32_e64 s3, 32, v10
	s_add_nc_u64 s[22:23], s[6:7], s[22:23]
	s_cmp_eq_u64 s[6:7], 0
	s_add_nc_u64 s[4:5], s[4:5], 8
	s_wait_alu 0xf1ff
	v_cndmask_b32_e64 v10, v0, v10, s3
	v_cmp_gt_i32_e64 s3, 32, v11
	s_cselect_b32 s7, s5, s23
	s_cselect_b32 s6, s4, s22
	s_cmp_lg_u32 s26, 0
	v_lshlrev_b32_e32 v21, 2, v10
	s_wait_alu 0xf1ff
	v_cndmask_b32_e64 v11, v0, v11, s3
	v_cmp_gt_i32_e64 s3, 32, v12
	s_load_b64 s[22:23], s[6:7], 0x0
	v_lshlrev_b32_e32 v22, 2, v11
	v_cndmask_b32_e64 v12, v0, v12, s3
	v_lshlrev_b32_e32 v0, 2, v9
	s_wait_kmcnt 0x0
	s_sub_nc_u64 s[4:5], s[24:25], s[12:13]
	v_add_co_u32 v11, s7, s18, v13
	v_mad_co_u64_u32 v[9:10], null, s14, s4, v[5:6]
	s_mul_i32 s3, s15, s4
	s_mul_i32 s6, s14, s5
	v_lshlrev_b32_e32 v23, 2, v12
	v_add_co_ci_u32_e64 v12, null, s19, 0, s7
	s_wait_alu 0xfffe
	v_add3_u32 v13, s6, s3, v10
	v_mul_lo_u32 v14, s15, v9
	v_mad_co_u64_u32 v[9:10], null, s14, v9, 0
	v_add_co_u32 v11, s3, v11, 4
	s_delay_alu instid0(VALU_DEP_4)
	v_mul_lo_u32 v13, s14, v13
	v_cmp_lt_i64_e64 s30, s[24:25], s[22:23]
	s_wait_alu 0xf1ff
	v_add_co_ci_u32_e64 v12, null, 0, v12, s3
	s_cselect_b32 s3, -1, 0
	s_lshl_b64 s[6:7], s[16:17], 3
	s_and_b32 s29, vcc_lo, s2
	s_wait_alu 0xfffe
	s_add_nc_u64 s[6:7], s[20:21], s[6:7]
	v_add3_u32 v10, v10, v13, v14
	s_sub_nc_u64 s[16:17], s[22:23], s[12:13]
	s_lshl_b64 s[18:19], s[14:15], 3
	s_lshl_b64 s[20:21], s[14:15], 4
	s_mul_u64 s[22:23], s[14:15], s[14:15]
	s_branch .LBB31_8
.LBB31_7:                               ;   in Loop: Header=BB31_8 Depth=1
	s_wait_alu 0xfffe
	s_or_b32 exec_lo, exec_lo, s2
	v_add_co_u32 v5, vcc_lo, v5, 16
	s_wait_alu 0xfffd
	v_add_co_ci_u32_e64 v6, null, 0, v6, vcc_lo
	v_add_co_u32 v9, s2, v9, s20
	s_wait_alu 0xf1ff
	v_add_co_ci_u32_e64 v10, null, s21, v10, s2
	s_delay_alu instid0(VALU_DEP_3) | instskip(SKIP_1) | instid1(SALU_CYCLE_1)
	v_cmp_le_i64_e32 vcc_lo, s[14:15], v[5:6]
	s_or_b32 s28, vcc_lo, s28
	s_and_not1_b32 exec_lo, exec_lo, s28
	s_cbranch_execz .LBB31_24
.LBB31_8:                               ; =>This Loop Header: Depth=1
                                        ;     Child Loop BB31_12 Depth 2
                                        ;       Child Loop BB31_15 Depth 3
	v_dual_mov_b32 v24, 0 :: v_dual_mov_b32 v25, 0
	s_and_not1_b32 vcc_lo, exec_lo, s30
	s_wait_alu 0xfffe
	s_cbranch_vccnz .LBB31_19
; %bb.9:                                ;   in Loop: Header=BB31_8 Depth=1
	s_wait_dscnt 0x1
	v_dual_mov_b32 v14, v10 :: v_dual_mov_b32 v25, 0
	v_dual_mov_b32 v24, 0 :: v_dual_mov_b32 v13, v9
	s_mov_b64 s[24:25], s[4:5]
	s_branch .LBB31_12
.LBB31_10:                              ;   in Loop: Header=BB31_12 Depth=2
	s_or_b32 exec_lo, exec_lo, s33
.LBB31_11:                              ;   in Loop: Header=BB31_12 Depth=2
	s_delay_alu instid0(SALU_CYCLE_1)
	s_or_b32 exec_lo, exec_lo, s31
	s_wait_alu 0xfffe
	s_add_nc_u64 s[24:25], s[24:25], 1
	v_add_co_u32 v13, vcc_lo, v13, s22
	s_wait_alu 0xfffe
	v_cmp_ge_i64_e64 s2, s[24:25], s[16:17]
	s_wait_alu 0xfffd
	v_add_co_ci_u32_e64 v14, null, s23, v14, vcc_lo
	s_and_b32 vcc_lo, exec_lo, s2
	s_wait_alu 0xfffe
	s_cbranch_vccnz .LBB31_19
.LBB31_12:                              ;   Parent Loop BB31_8 Depth=1
                                        ; =>  This Loop Header: Depth=2
                                        ;       Child Loop BB31_15 Depth 3
	s_and_saveexec_b32 s31, s0
	s_cbranch_execz .LBB31_11
; %bb.13:                               ;   in Loop: Header=BB31_12 Depth=2
	s_wait_alu 0xfffe
	s_lshl_b64 s[26:27], s[24:25], 3
	v_dual_mov_b32 v18, v8 :: v_dual_mov_b32 v17, v7
	s_wait_alu 0xfffe
	s_add_nc_u64 s[26:27], s[8:9], s[26:27]
	s_mov_b32 s33, 0
	s_load_b64 s[26:27], s[26:27], 0x0
	s_wait_kmcnt 0x0
	s_sub_nc_u64 s[26:27], s[26:27], s[12:13]
	s_wait_dscnt 0x0
	s_wait_alu 0xfffe
	v_mad_co_u64_u32 v[15:16], null, s18, s26, v[11:12]
	s_mul_i32 s2, s19, s26
	s_mul_i32 s26, s18, s27
	s_wait_alu 0xfffe
	v_add3_u32 v16, s26, s2, v16
	s_mul_u64 s[26:27], s[24:25], s[14:15]
	s_branch .LBB31_15
.LBB31_14:                              ;   in Loop: Header=BB31_15 Depth=3
	s_delay_alu instid0(VALU_DEP_1) | instskip(NEXT) | instid1(VALU_DEP_1)
	v_lshlrev_b64_e32 v[19:20], 3, v[19:20]
	v_add_co_u32 v19, vcc_lo, s10, v19
	s_wait_alu 0xfffd
	s_delay_alu instid0(VALU_DEP_2)
	v_add_co_ci_u32_e64 v20, null, s11, v20, vcc_lo
	v_add_co_u32 v17, vcc_lo, v17, 16
	global_load_b64 v[26:27], v[15:16], off offset:-4
	global_load_b64 v[19:20], v[19:20], off
	s_wait_alu 0xfffd
	v_add_co_ci_u32_e64 v18, null, 0, v18, vcc_lo
	v_add_co_u32 v15, s2, 0x80, v15
	s_wait_alu 0xf1ff
	v_add_co_ci_u32_e64 v16, null, 0, v16, s2
	s_delay_alu instid0(VALU_DEP_3) | instskip(SKIP_4) | instid1(VALU_DEP_2)
	v_cmp_le_i64_e32 vcc_lo, s[14:15], v[17:18]
	s_or_b32 s33, vcc_lo, s33
	s_wait_loadcnt 0x0
	v_fmac_f32_e32 v25, v19, v26
	v_fmac_f32_e32 v24, v20, v26
	v_fma_f32 v25, -v20, v27, v25
	s_delay_alu instid0(VALU_DEP_2)
	v_fmac_f32_e32 v24, v19, v27
	s_and_not1_b32 exec_lo, exec_lo, s33
	s_cbranch_execz .LBB31_10
.LBB31_15:                              ;   Parent Loop BB31_8 Depth=1
                                        ;     Parent Loop BB31_12 Depth=2
                                        ; =>    This Inner Loop Header: Depth=3
	s_and_b32 vcc_lo, exec_lo, s3
	s_wait_alu 0xfffe
	s_cbranch_vccz .LBB31_17
; %bb.16:                               ;   in Loop: Header=BB31_15 Depth=3
	v_add_co_u32 v19, vcc_lo, v17, s26
	s_wait_alu 0xfffd
	v_add_co_ci_u32_e64 v20, null, s27, v18, vcc_lo
	s_delay_alu instid0(VALU_DEP_2) | instskip(NEXT) | instid1(VALU_DEP_2)
	v_mul_lo_u32 v26, v19, s15
	v_mul_lo_u32 v27, v20, s14
	v_mad_co_u64_u32 v[19:20], null, v19, s14, v[5:6]
	s_delay_alu instid0(VALU_DEP_1)
	v_add3_u32 v20, v27, v20, v26
	s_cbranch_execnz .LBB31_14
	s_branch .LBB31_18
.LBB31_17:                              ;   in Loop: Header=BB31_15 Depth=3
                                        ; implicit-def: $vgpr19_vgpr20
.LBB31_18:                              ;   in Loop: Header=BB31_15 Depth=3
	v_add_co_u32 v19, vcc_lo, v13, v17
	s_wait_alu 0xfffd
	v_add_co_ci_u32_e64 v20, null, v14, v18, vcc_lo
	s_branch .LBB31_14
.LBB31_19:                              ;   in Loop: Header=BB31_8 Depth=1
	ds_bpermute_b32 v13, v0, v25
	s_wait_dscnt 0x2
	ds_bpermute_b32 v14, v0, v24
	s_wait_dscnt 0x0
	v_dual_add_f32 v13, v25, v13 :: v_dual_add_f32 v14, v24, v14
	ds_bpermute_b32 v15, v21, v13
	ds_bpermute_b32 v16, v21, v14
	s_wait_dscnt 0x0
	v_dual_add_f32 v13, v13, v15 :: v_dual_add_f32 v14, v14, v16
	ds_bpermute_b32 v15, v22, v13
	ds_bpermute_b32 v16, v22, v14
	s_wait_dscnt 0x1
	v_add_f32_e32 v13, v13, v15
	s_wait_dscnt 0x0
	v_add_f32_e32 v15, v14, v16
	ds_bpermute_b32 v14, v23, v13
	ds_bpermute_b32 v16, v23, v15
	s_and_saveexec_b32 s2, s1
	s_cbranch_execz .LBB31_7
; %bb.20:                               ;   in Loop: Header=BB31_8 Depth=1
	s_wait_dscnt 0x1
	v_add_f32_e32 v17, v13, v14
	s_wait_dscnt 0x0
	v_add_f32_e32 v15, v15, v16
	s_delay_alu instid0(VALU_DEP_1) | instskip(NEXT) | instid1(VALU_DEP_1)
	v_mul_f32_e32 v14, v1, v15
	v_fmac_f32_e32 v14, v2, v17
	v_mul_f32_e64 v13, v15, -v2
	v_lshlrev_b64_e32 v[15:16], 3, v[5:6]
	s_delay_alu instid0(VALU_DEP_2)
	v_fmac_f32_e32 v13, v1, v17
	s_and_saveexec_b32 s24, s29
	s_wait_alu 0xfffe
	s_xor_b32 s24, exec_lo, s24
	s_cbranch_execz .LBB31_22
; %bb.21:                               ;   in Loop: Header=BB31_8 Depth=1
	v_add_co_u32 v15, vcc_lo, s6, v15
	s_wait_alu 0xfffd
	v_add_co_ci_u32_e64 v16, null, s7, v16, vcc_lo
	global_store_b64 v[15:16], v[13:14], off
                                        ; implicit-def: $vgpr15_vgpr16
                                        ; implicit-def: $vgpr13
.LBB31_22:                              ;   in Loop: Header=BB31_8 Depth=1
	s_wait_alu 0xfffe
	s_and_not1_saveexec_b32 s24, s24
	s_cbranch_execz .LBB31_7
; %bb.23:                               ;   in Loop: Header=BB31_8 Depth=1
	v_add_co_u32 v15, vcc_lo, s6, v15
	s_wait_alu 0xfffd
	v_add_co_ci_u32_e64 v16, null, s7, v16, vcc_lo
	global_load_b64 v[17:18], v[15:16], off
	s_wait_loadcnt 0x0
	v_fmac_f32_e32 v13, v3, v17
	v_fmac_f32_e32 v14, v4, v17
	s_delay_alu instid0(VALU_DEP_2) | instskip(NEXT) | instid1(VALU_DEP_2)
	v_fma_f32 v13, -v4, v18, v13
	v_fmac_f32_e32 v14, v3, v18
	global_store_b64 v[15:16], v[13:14], off
	s_branch .LBB31_7
.LBB31_24:
	s_endpgm
	.section	.rodata,"a",@progbits
	.p2align	6, 0x0
	.amdhsa_kernel _ZN9rocsparseL22bsrxmvn_general_kernelILj256ELj16E21rocsparse_complex_numIfEllS2_S2_S2_EEv20rocsparse_direction_NS_24const_host_device_scalarIT1_EET3_PKS7_PKT2_SC_S9_PKT4_S7_PKT5_S6_PT6_21rocsparse_index_base_b
		.amdhsa_group_segment_fixed_size 0
		.amdhsa_private_segment_fixed_size 0
		.amdhsa_kernarg_size 104
		.amdhsa_user_sgpr_count 2
		.amdhsa_user_sgpr_dispatch_ptr 0
		.amdhsa_user_sgpr_queue_ptr 0
		.amdhsa_user_sgpr_kernarg_segment_ptr 1
		.amdhsa_user_sgpr_dispatch_id 0
		.amdhsa_user_sgpr_private_segment_size 0
		.amdhsa_wavefront_size32 1
		.amdhsa_uses_dynamic_stack 0
		.amdhsa_enable_private_segment 0
		.amdhsa_system_sgpr_workgroup_id_x 1
		.amdhsa_system_sgpr_workgroup_id_y 0
		.amdhsa_system_sgpr_workgroup_id_z 0
		.amdhsa_system_sgpr_workgroup_info 0
		.amdhsa_system_vgpr_workitem_id 0
		.amdhsa_next_free_vgpr 28
		.amdhsa_next_free_sgpr 34
		.amdhsa_reserve_vcc 1
		.amdhsa_float_round_mode_32 0
		.amdhsa_float_round_mode_16_64 0
		.amdhsa_float_denorm_mode_32 3
		.amdhsa_float_denorm_mode_16_64 3
		.amdhsa_fp16_overflow 0
		.amdhsa_workgroup_processor_mode 1
		.amdhsa_memory_ordered 1
		.amdhsa_forward_progress 1
		.amdhsa_inst_pref_size 12
		.amdhsa_round_robin_scheduling 0
		.amdhsa_exception_fp_ieee_invalid_op 0
		.amdhsa_exception_fp_denorm_src 0
		.amdhsa_exception_fp_ieee_div_zero 0
		.amdhsa_exception_fp_ieee_overflow 0
		.amdhsa_exception_fp_ieee_underflow 0
		.amdhsa_exception_fp_ieee_inexact 0
		.amdhsa_exception_int_div_zero 0
	.end_amdhsa_kernel
	.section	.text._ZN9rocsparseL22bsrxmvn_general_kernelILj256ELj16E21rocsparse_complex_numIfEllS2_S2_S2_EEv20rocsparse_direction_NS_24const_host_device_scalarIT1_EET3_PKS7_PKT2_SC_S9_PKT4_S7_PKT5_S6_PT6_21rocsparse_index_base_b,"axG",@progbits,_ZN9rocsparseL22bsrxmvn_general_kernelILj256ELj16E21rocsparse_complex_numIfEllS2_S2_S2_EEv20rocsparse_direction_NS_24const_host_device_scalarIT1_EET3_PKS7_PKT2_SC_S9_PKT4_S7_PKT5_S6_PT6_21rocsparse_index_base_b,comdat
.Lfunc_end31:
	.size	_ZN9rocsparseL22bsrxmvn_general_kernelILj256ELj16E21rocsparse_complex_numIfEllS2_S2_S2_EEv20rocsparse_direction_NS_24const_host_device_scalarIT1_EET3_PKS7_PKT2_SC_S9_PKT4_S7_PKT5_S6_PT6_21rocsparse_index_base_b, .Lfunc_end31-_ZN9rocsparseL22bsrxmvn_general_kernelILj256ELj16E21rocsparse_complex_numIfEllS2_S2_S2_EEv20rocsparse_direction_NS_24const_host_device_scalarIT1_EET3_PKS7_PKT2_SC_S9_PKT4_S7_PKT5_S6_PT6_21rocsparse_index_base_b
                                        ; -- End function
	.set _ZN9rocsparseL22bsrxmvn_general_kernelILj256ELj16E21rocsparse_complex_numIfEllS2_S2_S2_EEv20rocsparse_direction_NS_24const_host_device_scalarIT1_EET3_PKS7_PKT2_SC_S9_PKT4_S7_PKT5_S6_PT6_21rocsparse_index_base_b.num_vgpr, 28
	.set _ZN9rocsparseL22bsrxmvn_general_kernelILj256ELj16E21rocsparse_complex_numIfEllS2_S2_S2_EEv20rocsparse_direction_NS_24const_host_device_scalarIT1_EET3_PKS7_PKT2_SC_S9_PKT4_S7_PKT5_S6_PT6_21rocsparse_index_base_b.num_agpr, 0
	.set _ZN9rocsparseL22bsrxmvn_general_kernelILj256ELj16E21rocsparse_complex_numIfEllS2_S2_S2_EEv20rocsparse_direction_NS_24const_host_device_scalarIT1_EET3_PKS7_PKT2_SC_S9_PKT4_S7_PKT5_S6_PT6_21rocsparse_index_base_b.numbered_sgpr, 34
	.set _ZN9rocsparseL22bsrxmvn_general_kernelILj256ELj16E21rocsparse_complex_numIfEllS2_S2_S2_EEv20rocsparse_direction_NS_24const_host_device_scalarIT1_EET3_PKS7_PKT2_SC_S9_PKT4_S7_PKT5_S6_PT6_21rocsparse_index_base_b.num_named_barrier, 0
	.set _ZN9rocsparseL22bsrxmvn_general_kernelILj256ELj16E21rocsparse_complex_numIfEllS2_S2_S2_EEv20rocsparse_direction_NS_24const_host_device_scalarIT1_EET3_PKS7_PKT2_SC_S9_PKT4_S7_PKT5_S6_PT6_21rocsparse_index_base_b.private_seg_size, 0
	.set _ZN9rocsparseL22bsrxmvn_general_kernelILj256ELj16E21rocsparse_complex_numIfEllS2_S2_S2_EEv20rocsparse_direction_NS_24const_host_device_scalarIT1_EET3_PKS7_PKT2_SC_S9_PKT4_S7_PKT5_S6_PT6_21rocsparse_index_base_b.uses_vcc, 1
	.set _ZN9rocsparseL22bsrxmvn_general_kernelILj256ELj16E21rocsparse_complex_numIfEllS2_S2_S2_EEv20rocsparse_direction_NS_24const_host_device_scalarIT1_EET3_PKS7_PKT2_SC_S9_PKT4_S7_PKT5_S6_PT6_21rocsparse_index_base_b.uses_flat_scratch, 0
	.set _ZN9rocsparseL22bsrxmvn_general_kernelILj256ELj16E21rocsparse_complex_numIfEllS2_S2_S2_EEv20rocsparse_direction_NS_24const_host_device_scalarIT1_EET3_PKS7_PKT2_SC_S9_PKT4_S7_PKT5_S6_PT6_21rocsparse_index_base_b.has_dyn_sized_stack, 0
	.set _ZN9rocsparseL22bsrxmvn_general_kernelILj256ELj16E21rocsparse_complex_numIfEllS2_S2_S2_EEv20rocsparse_direction_NS_24const_host_device_scalarIT1_EET3_PKS7_PKT2_SC_S9_PKT4_S7_PKT5_S6_PT6_21rocsparse_index_base_b.has_recursion, 0
	.set _ZN9rocsparseL22bsrxmvn_general_kernelILj256ELj16E21rocsparse_complex_numIfEllS2_S2_S2_EEv20rocsparse_direction_NS_24const_host_device_scalarIT1_EET3_PKS7_PKT2_SC_S9_PKT4_S7_PKT5_S6_PT6_21rocsparse_index_base_b.has_indirect_call, 0
	.section	.AMDGPU.csdata,"",@progbits
; Kernel info:
; codeLenInByte = 1536
; TotalNumSgprs: 36
; NumVgprs: 28
; ScratchSize: 0
; MemoryBound: 0
; FloatMode: 240
; IeeeMode: 1
; LDSByteSize: 0 bytes/workgroup (compile time only)
; SGPRBlocks: 0
; VGPRBlocks: 3
; NumSGPRsForWavesPerEU: 36
; NumVGPRsForWavesPerEU: 28
; Occupancy: 16
; WaveLimiterHint : 0
; COMPUTE_PGM_RSRC2:SCRATCH_EN: 0
; COMPUTE_PGM_RSRC2:USER_SGPR: 2
; COMPUTE_PGM_RSRC2:TRAP_HANDLER: 0
; COMPUTE_PGM_RSRC2:TGID_X_EN: 1
; COMPUTE_PGM_RSRC2:TGID_Y_EN: 0
; COMPUTE_PGM_RSRC2:TGID_Z_EN: 0
; COMPUTE_PGM_RSRC2:TIDIG_COMP_CNT: 0
	.section	.text._ZN9rocsparseL22bsrxmvn_general_kernelILj1024ELj32E21rocsparse_complex_numIfEllS2_S2_S2_EEv20rocsparse_direction_NS_24const_host_device_scalarIT1_EET3_PKS7_PKT2_SC_S9_PKT4_S7_PKT5_S6_PT6_21rocsparse_index_base_b,"axG",@progbits,_ZN9rocsparseL22bsrxmvn_general_kernelILj1024ELj32E21rocsparse_complex_numIfEllS2_S2_S2_EEv20rocsparse_direction_NS_24const_host_device_scalarIT1_EET3_PKS7_PKT2_SC_S9_PKT4_S7_PKT5_S6_PT6_21rocsparse_index_base_b,comdat
	.globl	_ZN9rocsparseL22bsrxmvn_general_kernelILj1024ELj32E21rocsparse_complex_numIfEllS2_S2_S2_EEv20rocsparse_direction_NS_24const_host_device_scalarIT1_EET3_PKS7_PKT2_SC_S9_PKT4_S7_PKT5_S6_PT6_21rocsparse_index_base_b ; -- Begin function _ZN9rocsparseL22bsrxmvn_general_kernelILj1024ELj32E21rocsparse_complex_numIfEllS2_S2_S2_EEv20rocsparse_direction_NS_24const_host_device_scalarIT1_EET3_PKS7_PKT2_SC_S9_PKT4_S7_PKT5_S6_PT6_21rocsparse_index_base_b
	.p2align	8
	.type	_ZN9rocsparseL22bsrxmvn_general_kernelILj1024ELj32E21rocsparse_complex_numIfEllS2_S2_S2_EEv20rocsparse_direction_NS_24const_host_device_scalarIT1_EET3_PKS7_PKT2_SC_S9_PKT4_S7_PKT5_S6_PT6_21rocsparse_index_base_b,@function
_ZN9rocsparseL22bsrxmvn_general_kernelILj1024ELj32E21rocsparse_complex_numIfEllS2_S2_S2_EEv20rocsparse_direction_NS_24const_host_device_scalarIT1_EET3_PKS7_PKT2_SC_S9_PKT4_S7_PKT5_S6_PT6_21rocsparse_index_base_b: ; @_ZN9rocsparseL22bsrxmvn_general_kernelILj1024ELj32E21rocsparse_complex_numIfEllS2_S2_S2_EEv20rocsparse_direction_NS_24const_host_device_scalarIT1_EET3_PKS7_PKT2_SC_S9_PKT4_S7_PKT5_S6_PT6_21rocsparse_index_base_b
; %bb.0:
	s_clause 0x2
	s_load_b64 s[12:13], s[0:1], 0x60
	s_load_b64 s[2:3], s[0:1], 0x8
	;; [unrolled: 1-line block ×3, first 2 shown]
	s_add_nc_u64 s[6:7], s[0:1], 8
	s_wait_kmcnt 0x0
	s_bitcmp1_b32 s13, 0
	s_cselect_b32 s2, s6, s2
	s_cselect_b32 s3, s7, s3
	s_delay_alu instid0(SALU_CYCLE_1)
	v_dual_mov_b32 v1, s2 :: v_dual_mov_b32 v2, s3
	s_add_nc_u64 s[2:3], s[0:1], 0x50
	s_wait_alu 0xfffe
	s_cselect_b32 s2, s2, s4
	s_cselect_b32 s3, s3, s5
	flat_load_b64 v[1:2], v[1:2]
	s_wait_alu 0xfffe
	v_dual_mov_b32 v3, s2 :: v_dual_mov_b32 v4, s3
	flat_load_b64 v[3:4], v[3:4]
	s_wait_loadcnt_dscnt 0x101
	v_cmp_eq_f32_e32 vcc_lo, 0, v1
	v_cmp_eq_f32_e64 s2, 0, v2
	s_and_b32 s4, vcc_lo, s2
	s_mov_b32 s2, -1
	s_and_saveexec_b32 s3, s4
	s_cbranch_execz .LBB32_2
; %bb.1:
	s_wait_loadcnt_dscnt 0x0
	v_cmp_neq_f32_e32 vcc_lo, 1.0, v3
	v_cmp_neq_f32_e64 s2, 0, v4
	s_wait_alu 0xfffe
	s_or_b32 s2, vcc_lo, s2
	s_wait_alu 0xfffe
	s_or_not1_b32 s2, s2, exec_lo
.LBB32_2:
	s_wait_alu 0xfffe
	s_or_b32 exec_lo, exec_lo, s3
	s_and_saveexec_b32 s3, s2
	s_cbranch_execz .LBB32_24
; %bb.3:
	s_load_b64 s[2:3], s[0:1], 0x18
	s_mov_b32 s21, 0
	s_mov_b32 s20, ttmp9
	s_mov_b32 s13, s21
	s_wait_kmcnt 0x0
	s_cmp_eq_u64 s[2:3], 0
	s_cbranch_scc1 .LBB32_5
; %bb.4:
	s_lshl_b64 s[4:5], s[20:21], 3
	s_delay_alu instid0(SALU_CYCLE_1)
	s_add_nc_u64 s[2:3], s[2:3], s[4:5]
	s_load_b64 s[2:3], s[2:3], 0x0
	s_wait_kmcnt 0x0
	s_sub_nc_u64 s[20:21], s[2:3], s[12:13]
.LBB32_5:
	s_load_b64 s[14:15], s[0:1], 0x40
	v_lshrrev_b32_e32 v5, 5, v0
	v_mov_b32_e32 v6, 0
	s_wait_kmcnt 0x0
	s_delay_alu instid0(VALU_DEP_1)
	v_cmp_gt_i64_e32 vcc_lo, s[14:15], v[5:6]
	s_and_b32 exec_lo, exec_lo, vcc_lo
	s_cbranch_execz .LBB32_24
; %bb.6:
	s_clause 0x2
	s_load_b256 s[4:11], s[0:1], 0x20
	s_load_b64 s[16:17], s[0:1], 0x48
	s_load_b64 s[18:19], s[0:1], 0x58
	v_dual_mov_b32 v8, v6 :: v_dual_and_b32 v7, 31, v0
	v_mbcnt_lo_u32_b32 v0, -1, 0
	s_lshl_b64 s[22:23], s[20:21], 3
	s_load_b32 s26, s[0:1], 0x0
	s_wait_loadcnt_dscnt 0x0
	v_cmp_eq_f32_e32 vcc_lo, 0, v3
	v_cmp_eq_f32_e64 s2, 0, v4
	v_xor_b32_e32 v9, 16, v0
	v_xor_b32_e32 v10, 8, v0
	;; [unrolled: 1-line block ×5, first 2 shown]
	v_cmp_gt_i32_e64 s3, 32, v9
	v_lshlrev_b32_e32 v14, 3, v7
	s_mul_u64 s[20:21], s[20:21], s[14:15]
	v_cmp_gt_u64_e64 s0, s[14:15], v[7:8]
	v_cmp_eq_u32_e64 s1, 31, v7
	s_wait_kmcnt 0x0
	s_add_nc_u64 s[4:5], s[4:5], s[22:23]
	v_cndmask_b32_e64 v9, v0, v9, s3
	s_load_b64 s[24:25], s[4:5], 0x0
	v_cmp_gt_i32_e64 s3, 32, v10
	s_add_nc_u64 s[22:23], s[6:7], s[22:23]
	s_cmp_eq_u64 s[6:7], 0
	s_add_nc_u64 s[4:5], s[4:5], 8
	s_mov_b32 s28, 0
	s_wait_alu 0xf1ff
	v_cndmask_b32_e64 v10, v0, v10, s3
	v_cmp_gt_i32_e64 s3, 32, v11
	s_cselect_b32 s5, s5, s23
	s_cselect_b32 s4, s4, s22
	s_cmp_lg_u32 s26, 0
	s_load_b64 s[22:23], s[4:5], 0x0
	v_cndmask_b32_e64 v11, v0, v11, s3
	v_cmp_gt_i32_e64 s3, 32, v12
	v_lshlrev_b32_e32 v21, 2, v10
	s_delay_alu instid0(VALU_DEP_3) | instskip(SKIP_1) | instid1(VALU_DEP_3)
	v_lshlrev_b32_e32 v22, 2, v11
	s_wait_alu 0xf1ff
	v_cndmask_b32_e64 v12, v0, v12, s3
	v_cmp_gt_i32_e64 s3, 32, v13
	s_wait_kmcnt 0x0
	s_sub_nc_u64 s[4:5], s[24:25], s[12:13]
	s_delay_alu instid0(SALU_CYCLE_1)
	s_mul_i32 s6, s14, s5
	v_lshlrev_b32_e32 v23, 2, v12
	v_cndmask_b32_e64 v13, v0, v13, s3
	v_lshlrev_b32_e32 v0, 2, v9
	v_mad_co_u64_u32 v[9:10], null, s14, s4, v[5:6]
	s_cselect_b32 s3, -1, 0
	s_and_b32 s29, vcc_lo, s2
	s_mul_i32 s2, s15, s4
	v_lshlrev_b32_e32 v24, 2, v13
	v_cmp_lt_i64_e64 s30, s[24:25], s[22:23]
	s_lshl_b64 s[20:21], s[20:21], 3
	s_wait_alu 0xfffe
	v_add3_u32 v11, s6, s2, v10
	v_mul_lo_u32 v13, s15, v9
	v_mad_co_u64_u32 v[9:10], null, s14, v9, 0
	s_sub_nc_u64 s[6:7], s[22:23], s[12:13]
	v_mul_lo_u32 v15, s14, v11
	v_add_co_u32 v11, s2, s16, v14
	s_wait_alu 0xf1ff
	v_add_co_ci_u32_e64 v12, null, s17, 0, s2
	s_add_nc_u64 s[16:17], s[18:19], s[20:21]
	v_add_co_u32 v11, vcc_lo, v11, 4
	s_delay_alu instid0(VALU_DEP_1)
	v_add_co_ci_u32_e64 v12, null, 0, v12, vcc_lo
	v_add3_u32 v10, v10, v15, v13
	s_lshl_b64 s[18:19], s[14:15], 3
	s_lshl_b64 s[20:21], s[14:15], 5
	s_mul_u64 s[22:23], s[14:15], s[14:15]
	s_branch .LBB32_8
.LBB32_7:                               ;   in Loop: Header=BB32_8 Depth=1
	s_wait_alu 0xfffe
	s_or_b32 exec_lo, exec_lo, s2
	v_add_co_u32 v5, vcc_lo, v5, 32
	s_wait_alu 0xfffd
	v_add_co_ci_u32_e64 v6, null, 0, v6, vcc_lo
	v_add_co_u32 v9, s2, v9, s20
	s_wait_alu 0xf1ff
	v_add_co_ci_u32_e64 v10, null, s21, v10, s2
	s_delay_alu instid0(VALU_DEP_3) | instskip(SKIP_1) | instid1(SALU_CYCLE_1)
	v_cmp_le_i64_e32 vcc_lo, s[14:15], v[5:6]
	s_or_b32 s28, vcc_lo, s28
	s_and_not1_b32 exec_lo, exec_lo, s28
	s_cbranch_execz .LBB32_24
.LBB32_8:                               ; =>This Loop Header: Depth=1
                                        ;     Child Loop BB32_12 Depth 2
                                        ;       Child Loop BB32_15 Depth 3
	v_dual_mov_b32 v25, 0 :: v_dual_mov_b32 v26, 0
	s_and_not1_b32 vcc_lo, exec_lo, s30
	s_wait_alu 0xfffe
	s_cbranch_vccnz .LBB32_19
; %bb.9:                                ;   in Loop: Header=BB32_8 Depth=1
	s_wait_dscnt 0x1
	v_dual_mov_b32 v25, 0 :: v_dual_mov_b32 v14, v10
	v_dual_mov_b32 v13, v9 :: v_dual_mov_b32 v26, 0
	s_mov_b64 s[24:25], s[4:5]
	s_branch .LBB32_12
.LBB32_10:                              ;   in Loop: Header=BB32_12 Depth=2
	s_or_b32 exec_lo, exec_lo, s33
.LBB32_11:                              ;   in Loop: Header=BB32_12 Depth=2
	s_delay_alu instid0(SALU_CYCLE_1)
	s_or_b32 exec_lo, exec_lo, s31
	s_wait_alu 0xfffe
	s_add_nc_u64 s[24:25], s[24:25], 1
	v_add_co_u32 v13, vcc_lo, v13, s22
	s_wait_alu 0xfffe
	v_cmp_ge_i64_e64 s2, s[24:25], s[6:7]
	s_wait_alu 0xfffd
	v_add_co_ci_u32_e64 v14, null, s23, v14, vcc_lo
	s_and_b32 vcc_lo, exec_lo, s2
	s_wait_alu 0xfffe
	s_cbranch_vccnz .LBB32_19
.LBB32_12:                              ;   Parent Loop BB32_8 Depth=1
                                        ; =>  This Loop Header: Depth=2
                                        ;       Child Loop BB32_15 Depth 3
	s_and_saveexec_b32 s31, s0
	s_cbranch_execz .LBB32_11
; %bb.13:                               ;   in Loop: Header=BB32_12 Depth=2
	s_wait_alu 0xfffe
	s_lshl_b64 s[26:27], s[24:25], 3
	v_dual_mov_b32 v18, v8 :: v_dual_mov_b32 v17, v7
	s_wait_alu 0xfffe
	s_add_nc_u64 s[26:27], s[8:9], s[26:27]
	s_mov_b32 s33, 0
	s_load_b64 s[26:27], s[26:27], 0x0
	s_wait_kmcnt 0x0
	s_sub_nc_u64 s[26:27], s[26:27], s[12:13]
	s_wait_dscnt 0x0
	s_wait_alu 0xfffe
	v_mad_co_u64_u32 v[15:16], null, s18, s26, v[11:12]
	s_mul_i32 s2, s19, s26
	s_mul_i32 s26, s18, s27
	s_wait_alu 0xfffe
	v_add3_u32 v16, s26, s2, v16
	s_mul_u64 s[26:27], s[24:25], s[14:15]
	s_branch .LBB32_15
.LBB32_14:                              ;   in Loop: Header=BB32_15 Depth=3
	s_delay_alu instid0(VALU_DEP_1) | instskip(NEXT) | instid1(VALU_DEP_1)
	v_lshlrev_b64_e32 v[19:20], 3, v[19:20]
	v_add_co_u32 v19, vcc_lo, s10, v19
	s_wait_alu 0xfffd
	s_delay_alu instid0(VALU_DEP_2)
	v_add_co_ci_u32_e64 v20, null, s11, v20, vcc_lo
	v_add_co_u32 v17, vcc_lo, v17, 32
	global_load_b64 v[27:28], v[15:16], off offset:-4
	global_load_b64 v[19:20], v[19:20], off
	s_wait_alu 0xfffd
	v_add_co_ci_u32_e64 v18, null, 0, v18, vcc_lo
	v_add_co_u32 v15, s2, 0x100, v15
	s_wait_alu 0xf1ff
	v_add_co_ci_u32_e64 v16, null, 0, v16, s2
	s_delay_alu instid0(VALU_DEP_3) | instskip(SKIP_4) | instid1(VALU_DEP_2)
	v_cmp_le_i64_e32 vcc_lo, s[14:15], v[17:18]
	s_or_b32 s33, vcc_lo, s33
	s_wait_loadcnt 0x0
	v_fmac_f32_e32 v26, v19, v27
	v_fmac_f32_e32 v25, v20, v27
	v_fma_f32 v26, -v20, v28, v26
	s_delay_alu instid0(VALU_DEP_2)
	v_fmac_f32_e32 v25, v19, v28
	s_and_not1_b32 exec_lo, exec_lo, s33
	s_cbranch_execz .LBB32_10
.LBB32_15:                              ;   Parent Loop BB32_8 Depth=1
                                        ;     Parent Loop BB32_12 Depth=2
                                        ; =>    This Inner Loop Header: Depth=3
	s_and_b32 vcc_lo, exec_lo, s3
	s_wait_alu 0xfffe
	s_cbranch_vccz .LBB32_17
; %bb.16:                               ;   in Loop: Header=BB32_15 Depth=3
	v_add_co_u32 v19, vcc_lo, v17, s26
	s_wait_alu 0xfffd
	v_add_co_ci_u32_e64 v20, null, s27, v18, vcc_lo
	s_delay_alu instid0(VALU_DEP_2) | instskip(NEXT) | instid1(VALU_DEP_2)
	v_mul_lo_u32 v27, v19, s15
	v_mul_lo_u32 v28, v20, s14
	v_mad_co_u64_u32 v[19:20], null, v19, s14, v[5:6]
	s_delay_alu instid0(VALU_DEP_1)
	v_add3_u32 v20, v28, v20, v27
	s_cbranch_execnz .LBB32_14
	s_branch .LBB32_18
.LBB32_17:                              ;   in Loop: Header=BB32_15 Depth=3
                                        ; implicit-def: $vgpr19_vgpr20
.LBB32_18:                              ;   in Loop: Header=BB32_15 Depth=3
	v_add_co_u32 v19, vcc_lo, v13, v17
	s_wait_alu 0xfffd
	v_add_co_ci_u32_e64 v20, null, v14, v18, vcc_lo
	s_branch .LBB32_14
.LBB32_19:                              ;   in Loop: Header=BB32_8 Depth=1
	ds_bpermute_b32 v13, v0, v26
	s_wait_dscnt 0x2
	ds_bpermute_b32 v14, v0, v25
	s_wait_dscnt 0x0
	v_dual_add_f32 v13, v26, v13 :: v_dual_add_f32 v14, v25, v14
	ds_bpermute_b32 v15, v21, v13
	ds_bpermute_b32 v16, v21, v14
	s_wait_dscnt 0x0
	v_dual_add_f32 v13, v13, v15 :: v_dual_add_f32 v14, v14, v16
	ds_bpermute_b32 v15, v22, v13
	;; [unrolled: 4-line block ×3, first 2 shown]
	ds_bpermute_b32 v16, v23, v14
	s_wait_dscnt 0x1
	v_add_f32_e32 v13, v13, v15
	s_wait_dscnt 0x0
	v_add_f32_e32 v15, v14, v16
	ds_bpermute_b32 v14, v24, v13
	ds_bpermute_b32 v16, v24, v15
	s_and_saveexec_b32 s2, s1
	s_cbranch_execz .LBB32_7
; %bb.20:                               ;   in Loop: Header=BB32_8 Depth=1
	s_wait_dscnt 0x1
	v_add_f32_e32 v17, v13, v14
	s_wait_dscnt 0x0
	v_add_f32_e32 v15, v15, v16
	s_delay_alu instid0(VALU_DEP_1) | instskip(NEXT) | instid1(VALU_DEP_1)
	v_mul_f32_e32 v14, v1, v15
	v_fmac_f32_e32 v14, v2, v17
	v_mul_f32_e64 v13, v15, -v2
	v_lshlrev_b64_e32 v[15:16], 3, v[5:6]
	s_delay_alu instid0(VALU_DEP_2)
	v_fmac_f32_e32 v13, v1, v17
	s_and_saveexec_b32 s24, s29
	s_wait_alu 0xfffe
	s_xor_b32 s24, exec_lo, s24
	s_cbranch_execz .LBB32_22
; %bb.21:                               ;   in Loop: Header=BB32_8 Depth=1
	v_add_co_u32 v15, vcc_lo, s16, v15
	s_wait_alu 0xfffd
	v_add_co_ci_u32_e64 v16, null, s17, v16, vcc_lo
	global_store_b64 v[15:16], v[13:14], off
                                        ; implicit-def: $vgpr15_vgpr16
                                        ; implicit-def: $vgpr13
.LBB32_22:                              ;   in Loop: Header=BB32_8 Depth=1
	s_wait_alu 0xfffe
	s_and_not1_saveexec_b32 s24, s24
	s_cbranch_execz .LBB32_7
; %bb.23:                               ;   in Loop: Header=BB32_8 Depth=1
	v_add_co_u32 v15, vcc_lo, s16, v15
	s_wait_alu 0xfffd
	v_add_co_ci_u32_e64 v16, null, s17, v16, vcc_lo
	global_load_b64 v[17:18], v[15:16], off
	s_wait_loadcnt 0x0
	v_fmac_f32_e32 v13, v3, v17
	v_fmac_f32_e32 v14, v4, v17
	s_delay_alu instid0(VALU_DEP_2) | instskip(NEXT) | instid1(VALU_DEP_2)
	v_fma_f32 v13, -v4, v18, v13
	v_fmac_f32_e32 v14, v3, v18
	global_store_b64 v[15:16], v[13:14], off
	s_branch .LBB32_7
.LBB32_24:
	s_endpgm
	.section	.rodata,"a",@progbits
	.p2align	6, 0x0
	.amdhsa_kernel _ZN9rocsparseL22bsrxmvn_general_kernelILj1024ELj32E21rocsparse_complex_numIfEllS2_S2_S2_EEv20rocsparse_direction_NS_24const_host_device_scalarIT1_EET3_PKS7_PKT2_SC_S9_PKT4_S7_PKT5_S6_PT6_21rocsparse_index_base_b
		.amdhsa_group_segment_fixed_size 0
		.amdhsa_private_segment_fixed_size 0
		.amdhsa_kernarg_size 104
		.amdhsa_user_sgpr_count 2
		.amdhsa_user_sgpr_dispatch_ptr 0
		.amdhsa_user_sgpr_queue_ptr 0
		.amdhsa_user_sgpr_kernarg_segment_ptr 1
		.amdhsa_user_sgpr_dispatch_id 0
		.amdhsa_user_sgpr_private_segment_size 0
		.amdhsa_wavefront_size32 1
		.amdhsa_uses_dynamic_stack 0
		.amdhsa_enable_private_segment 0
		.amdhsa_system_sgpr_workgroup_id_x 1
		.amdhsa_system_sgpr_workgroup_id_y 0
		.amdhsa_system_sgpr_workgroup_id_z 0
		.amdhsa_system_sgpr_workgroup_info 0
		.amdhsa_system_vgpr_workitem_id 0
		.amdhsa_next_free_vgpr 29
		.amdhsa_next_free_sgpr 34
		.amdhsa_reserve_vcc 1
		.amdhsa_float_round_mode_32 0
		.amdhsa_float_round_mode_16_64 0
		.amdhsa_float_denorm_mode_32 3
		.amdhsa_float_denorm_mode_16_64 3
		.amdhsa_fp16_overflow 0
		.amdhsa_workgroup_processor_mode 1
		.amdhsa_memory_ordered 1
		.amdhsa_forward_progress 1
		.amdhsa_inst_pref_size 13
		.amdhsa_round_robin_scheduling 0
		.amdhsa_exception_fp_ieee_invalid_op 0
		.amdhsa_exception_fp_denorm_src 0
		.amdhsa_exception_fp_ieee_div_zero 0
		.amdhsa_exception_fp_ieee_overflow 0
		.amdhsa_exception_fp_ieee_underflow 0
		.amdhsa_exception_fp_ieee_inexact 0
		.amdhsa_exception_int_div_zero 0
	.end_amdhsa_kernel
	.section	.text._ZN9rocsparseL22bsrxmvn_general_kernelILj1024ELj32E21rocsparse_complex_numIfEllS2_S2_S2_EEv20rocsparse_direction_NS_24const_host_device_scalarIT1_EET3_PKS7_PKT2_SC_S9_PKT4_S7_PKT5_S6_PT6_21rocsparse_index_base_b,"axG",@progbits,_ZN9rocsparseL22bsrxmvn_general_kernelILj1024ELj32E21rocsparse_complex_numIfEllS2_S2_S2_EEv20rocsparse_direction_NS_24const_host_device_scalarIT1_EET3_PKS7_PKT2_SC_S9_PKT4_S7_PKT5_S6_PT6_21rocsparse_index_base_b,comdat
.Lfunc_end32:
	.size	_ZN9rocsparseL22bsrxmvn_general_kernelILj1024ELj32E21rocsparse_complex_numIfEllS2_S2_S2_EEv20rocsparse_direction_NS_24const_host_device_scalarIT1_EET3_PKS7_PKT2_SC_S9_PKT4_S7_PKT5_S6_PT6_21rocsparse_index_base_b, .Lfunc_end32-_ZN9rocsparseL22bsrxmvn_general_kernelILj1024ELj32E21rocsparse_complex_numIfEllS2_S2_S2_EEv20rocsparse_direction_NS_24const_host_device_scalarIT1_EET3_PKS7_PKT2_SC_S9_PKT4_S7_PKT5_S6_PT6_21rocsparse_index_base_b
                                        ; -- End function
	.set _ZN9rocsparseL22bsrxmvn_general_kernelILj1024ELj32E21rocsparse_complex_numIfEllS2_S2_S2_EEv20rocsparse_direction_NS_24const_host_device_scalarIT1_EET3_PKS7_PKT2_SC_S9_PKT4_S7_PKT5_S6_PT6_21rocsparse_index_base_b.num_vgpr, 29
	.set _ZN9rocsparseL22bsrxmvn_general_kernelILj1024ELj32E21rocsparse_complex_numIfEllS2_S2_S2_EEv20rocsparse_direction_NS_24const_host_device_scalarIT1_EET3_PKS7_PKT2_SC_S9_PKT4_S7_PKT5_S6_PT6_21rocsparse_index_base_b.num_agpr, 0
	.set _ZN9rocsparseL22bsrxmvn_general_kernelILj1024ELj32E21rocsparse_complex_numIfEllS2_S2_S2_EEv20rocsparse_direction_NS_24const_host_device_scalarIT1_EET3_PKS7_PKT2_SC_S9_PKT4_S7_PKT5_S6_PT6_21rocsparse_index_base_b.numbered_sgpr, 34
	.set _ZN9rocsparseL22bsrxmvn_general_kernelILj1024ELj32E21rocsparse_complex_numIfEllS2_S2_S2_EEv20rocsparse_direction_NS_24const_host_device_scalarIT1_EET3_PKS7_PKT2_SC_S9_PKT4_S7_PKT5_S6_PT6_21rocsparse_index_base_b.num_named_barrier, 0
	.set _ZN9rocsparseL22bsrxmvn_general_kernelILj1024ELj32E21rocsparse_complex_numIfEllS2_S2_S2_EEv20rocsparse_direction_NS_24const_host_device_scalarIT1_EET3_PKS7_PKT2_SC_S9_PKT4_S7_PKT5_S6_PT6_21rocsparse_index_base_b.private_seg_size, 0
	.set _ZN9rocsparseL22bsrxmvn_general_kernelILj1024ELj32E21rocsparse_complex_numIfEllS2_S2_S2_EEv20rocsparse_direction_NS_24const_host_device_scalarIT1_EET3_PKS7_PKT2_SC_S9_PKT4_S7_PKT5_S6_PT6_21rocsparse_index_base_b.uses_vcc, 1
	.set _ZN9rocsparseL22bsrxmvn_general_kernelILj1024ELj32E21rocsparse_complex_numIfEllS2_S2_S2_EEv20rocsparse_direction_NS_24const_host_device_scalarIT1_EET3_PKS7_PKT2_SC_S9_PKT4_S7_PKT5_S6_PT6_21rocsparse_index_base_b.uses_flat_scratch, 0
	.set _ZN9rocsparseL22bsrxmvn_general_kernelILj1024ELj32E21rocsparse_complex_numIfEllS2_S2_S2_EEv20rocsparse_direction_NS_24const_host_device_scalarIT1_EET3_PKS7_PKT2_SC_S9_PKT4_S7_PKT5_S6_PT6_21rocsparse_index_base_b.has_dyn_sized_stack, 0
	.set _ZN9rocsparseL22bsrxmvn_general_kernelILj1024ELj32E21rocsparse_complex_numIfEllS2_S2_S2_EEv20rocsparse_direction_NS_24const_host_device_scalarIT1_EET3_PKS7_PKT2_SC_S9_PKT4_S7_PKT5_S6_PT6_21rocsparse_index_base_b.has_recursion, 0
	.set _ZN9rocsparseL22bsrxmvn_general_kernelILj1024ELj32E21rocsparse_complex_numIfEllS2_S2_S2_EEv20rocsparse_direction_NS_24const_host_device_scalarIT1_EET3_PKS7_PKT2_SC_S9_PKT4_S7_PKT5_S6_PT6_21rocsparse_index_base_b.has_indirect_call, 0
	.section	.AMDGPU.csdata,"",@progbits
; Kernel info:
; codeLenInByte = 1588
; TotalNumSgprs: 36
; NumVgprs: 29
; ScratchSize: 0
; MemoryBound: 0
; FloatMode: 240
; IeeeMode: 1
; LDSByteSize: 0 bytes/workgroup (compile time only)
; SGPRBlocks: 0
; VGPRBlocks: 3
; NumSGPRsForWavesPerEU: 36
; NumVGPRsForWavesPerEU: 29
; Occupancy: 16
; WaveLimiterHint : 0
; COMPUTE_PGM_RSRC2:SCRATCH_EN: 0
; COMPUTE_PGM_RSRC2:USER_SGPR: 2
; COMPUTE_PGM_RSRC2:TRAP_HANDLER: 0
; COMPUTE_PGM_RSRC2:TGID_X_EN: 1
; COMPUTE_PGM_RSRC2:TGID_Y_EN: 0
; COMPUTE_PGM_RSRC2:TGID_Z_EN: 0
; COMPUTE_PGM_RSRC2:TIDIG_COMP_CNT: 0
	.section	.text._ZN9rocsparseL22bsrxmvn_general_kernelILj64ELj8E21rocsparse_complex_numIdEllS2_S2_S2_EEv20rocsparse_direction_NS_24const_host_device_scalarIT1_EET3_PKS7_PKT2_SC_S9_PKT4_S7_PKT5_S6_PT6_21rocsparse_index_base_b,"axG",@progbits,_ZN9rocsparseL22bsrxmvn_general_kernelILj64ELj8E21rocsparse_complex_numIdEllS2_S2_S2_EEv20rocsparse_direction_NS_24const_host_device_scalarIT1_EET3_PKS7_PKT2_SC_S9_PKT4_S7_PKT5_S6_PT6_21rocsparse_index_base_b,comdat
	.globl	_ZN9rocsparseL22bsrxmvn_general_kernelILj64ELj8E21rocsparse_complex_numIdEllS2_S2_S2_EEv20rocsparse_direction_NS_24const_host_device_scalarIT1_EET3_PKS7_PKT2_SC_S9_PKT4_S7_PKT5_S6_PT6_21rocsparse_index_base_b ; -- Begin function _ZN9rocsparseL22bsrxmvn_general_kernelILj64ELj8E21rocsparse_complex_numIdEllS2_S2_S2_EEv20rocsparse_direction_NS_24const_host_device_scalarIT1_EET3_PKS7_PKT2_SC_S9_PKT4_S7_PKT5_S6_PT6_21rocsparse_index_base_b
	.p2align	8
	.type	_ZN9rocsparseL22bsrxmvn_general_kernelILj64ELj8E21rocsparse_complex_numIdEllS2_S2_S2_EEv20rocsparse_direction_NS_24const_host_device_scalarIT1_EET3_PKS7_PKT2_SC_S9_PKT4_S7_PKT5_S6_PT6_21rocsparse_index_base_b,@function
_ZN9rocsparseL22bsrxmvn_general_kernelILj64ELj8E21rocsparse_complex_numIdEllS2_S2_S2_EEv20rocsparse_direction_NS_24const_host_device_scalarIT1_EET3_PKS7_PKT2_SC_S9_PKT4_S7_PKT5_S6_PT6_21rocsparse_index_base_b: ; @_ZN9rocsparseL22bsrxmvn_general_kernelILj64ELj8E21rocsparse_complex_numIdEllS2_S2_S2_EEv20rocsparse_direction_NS_24const_host_device_scalarIT1_EET3_PKS7_PKT2_SC_S9_PKT4_S7_PKT5_S6_PT6_21rocsparse_index_base_b
; %bb.0:
	s_clause 0x1
	s_load_b64 s[12:13], s[0:1], 0x70
	s_load_b64 s[2:3], s[0:1], 0x8
	s_add_nc_u64 s[4:5], s[0:1], 8
	s_load_b64 s[6:7], s[0:1], 0x58
	s_wait_kmcnt 0x0
	s_bitcmp1_b32 s13, 0
	s_cselect_b32 s2, s4, s2
	s_cselect_b32 s3, s5, s3
	s_delay_alu instid0(SALU_CYCLE_1)
	v_dual_mov_b32 v1, s2 :: v_dual_mov_b32 v2, s3
	s_add_nc_u64 s[2:3], s[0:1], 0x58
	s_wait_alu 0xfffe
	s_cselect_b32 s2, s2, s6
	s_cselect_b32 s3, s3, s7
	flat_load_b128 v[1:4], v[1:2]
	s_wait_alu 0xfffe
	v_dual_mov_b32 v5, s2 :: v_dual_mov_b32 v6, s3
	flat_load_b128 v[5:8], v[5:6]
	s_wait_loadcnt_dscnt 0x101
	v_cmp_eq_f64_e32 vcc_lo, 0, v[1:2]
	v_cmp_eq_f64_e64 s2, 0, v[3:4]
	s_and_b32 s4, vcc_lo, s2
	s_mov_b32 s2, -1
	s_and_saveexec_b32 s3, s4
	s_cbranch_execz .LBB33_2
; %bb.1:
	s_wait_loadcnt_dscnt 0x0
	v_cmp_neq_f64_e32 vcc_lo, 1.0, v[5:6]
	v_cmp_neq_f64_e64 s2, 0, v[7:8]
	s_wait_alu 0xfffe
	s_or_b32 s2, vcc_lo, s2
	s_wait_alu 0xfffe
	s_or_not1_b32 s2, s2, exec_lo
.LBB33_2:
	s_wait_alu 0xfffe
	s_or_b32 exec_lo, exec_lo, s3
	s_and_saveexec_b32 s3, s2
	s_cbranch_execz .LBB33_24
; %bb.3:
	s_load_b64 s[2:3], s[0:1], 0x20
	s_mov_b32 s17, 0
	s_mov_b32 s16, ttmp9
	s_mov_b32 s13, s17
	s_wait_kmcnt 0x0
	s_cmp_eq_u64 s[2:3], 0
	s_cbranch_scc1 .LBB33_5
; %bb.4:
	s_lshl_b64 s[4:5], s[16:17], 3
	s_delay_alu instid0(SALU_CYCLE_1)
	s_add_nc_u64 s[2:3], s[2:3], s[4:5]
	s_load_b64 s[2:3], s[2:3], 0x0
	s_wait_kmcnt 0x0
	s_sub_nc_u64 s[16:17], s[2:3], s[12:13]
.LBB33_5:
	s_load_b64 s[14:15], s[0:1], 0x48
	v_lshrrev_b32_e32 v13, 3, v0
	v_mov_b32_e32 v14, 0
	s_wait_kmcnt 0x0
	s_delay_alu instid0(VALU_DEP_1)
	v_cmp_gt_i64_e32 vcc_lo, s[14:15], v[13:14]
	s_and_b32 exec_lo, exec_lo, vcc_lo
	s_cbranch_execz .LBB33_24
; %bb.6:
	s_clause 0x2
	s_load_b256 s[4:11], s[0:1], 0x28
	s_load_b64 s[18:19], s[0:1], 0x50
	s_load_b64 s[20:21], s[0:1], 0x68
	s_lshl_b64 s[22:23], s[16:17], 3
	v_dual_mov_b32 v16, v14 :: v_dual_and_b32 v15, 7, v0
	v_mbcnt_lo_u32_b32 v0, -1, 0
	s_wait_loadcnt_dscnt 0x0
	v_cmp_eq_f64_e32 vcc_lo, 0, v[5:6]
	v_cmp_eq_f64_e64 s2, 0, v[7:8]
	v_lshlrev_b32_e32 v12, 4, v15
	s_load_b32 s26, s[0:1], 0x0
	v_xor_b32_e32 v9, 4, v0
	v_xor_b32_e32 v10, 2, v0
	;; [unrolled: 1-line block ×3, first 2 shown]
	s_mul_u64 s[16:17], s[16:17], s[14:15]
	v_cmp_gt_u64_e64 s0, s[14:15], v[15:16]
	v_cmp_gt_i32_e64 s3, 32, v9
	v_cmp_eq_u32_e64 s1, 7, v15
	s_mov_b32 s28, 0
	s_wait_kmcnt 0x0
	s_add_nc_u64 s[4:5], s[4:5], s[22:23]
	s_wait_alu 0xf1ff
	v_cndmask_b32_e64 v9, v0, v9, s3
	s_load_b64 s[24:25], s[4:5], 0x0
	v_cmp_gt_i32_e64 s3, 32, v10
	s_add_nc_u64 s[22:23], s[6:7], s[22:23]
	s_cmp_eq_u64 s[6:7], 0
	s_add_nc_u64 s[4:5], s[4:5], 8
	s_wait_alu 0xf1ff
	v_cndmask_b32_e64 v10, v0, v10, s3
	v_cmp_gt_i32_e64 s3, 32, v11
	s_cselect_b32 s5, s5, s23
	s_cselect_b32 s4, s4, s22
	s_cmp_lg_u32 s26, 0
	s_load_b64 s[22:23], s[4:5], 0x0
	v_cndmask_b32_e64 v11, v0, v11, s3
	v_lshlrev_b32_e32 v0, 2, v9
	v_lshlrev_b32_e32 v29, 2, v10
	s_cselect_b32 s29, -1, 0
	s_delay_alu instid0(VALU_DEP_3)
	v_lshlrev_b32_e32 v30, 2, v11
	v_add_co_u32 v11, s3, s18, v12
	s_wait_kmcnt 0x0
	s_sub_nc_u64 s[4:5], s[24:25], s[12:13]
	s_wait_alu 0xf1ff
	v_add_co_ci_u32_e64 v12, null, s19, 0, s3
	v_mad_co_u64_u32 v[9:10], null, s14, s4, v[13:14]
	s_mul_i32 s3, s15, s4
	s_mul_i32 s6, s14, s5
	s_lshl_b64 s[18:19], s[14:15], 4
	v_cmp_lt_i64_e64 s30, s[24:25], s[22:23]
	s_wait_alu 0xfffe
	v_add3_u32 v10, s6, s3, v10
	v_mul_lo_u32 v21, s15, v9
	v_mad_co_u64_u32 v[17:18], null, s14, v9, 0
	v_add_co_u32 v19, s3, v11, 8
	s_delay_alu instid0(VALU_DEP_4)
	v_mul_lo_u32 v9, s14, v10
	s_wait_alu 0xf1ff
	v_add_co_ci_u32_e64 v20, null, 0, v12, s3
	s_lshl_b64 s[6:7], s[16:17], 4
	s_and_b32 s3, vcc_lo, s2
	s_wait_alu 0xfffe
	s_add_nc_u64 s[6:7], s[20:21], s[6:7]
	s_sub_nc_u64 s[16:17], s[22:23], s[12:13]
	s_lshl_b64 s[20:21], s[14:15], 3
	v_add3_u32 v18, v18, v9, v21
	s_mul_u64 s[22:23], s[14:15], s[14:15]
	s_branch .LBB33_8
.LBB33_7:                               ;   in Loop: Header=BB33_8 Depth=1
	s_wait_alu 0xfffe
	s_or_b32 exec_lo, exec_lo, s2
	v_add_co_u32 v13, vcc_lo, v13, 8
	s_wait_alu 0xfffd
	v_add_co_ci_u32_e64 v14, null, 0, v14, vcc_lo
	v_add_co_u32 v17, s2, v17, s20
	s_wait_alu 0xf1ff
	v_add_co_ci_u32_e64 v18, null, s21, v18, s2
	s_delay_alu instid0(VALU_DEP_3) | instskip(SKIP_1) | instid1(SALU_CYCLE_1)
	v_cmp_le_i64_e32 vcc_lo, s[14:15], v[13:14]
	s_or_b32 s28, vcc_lo, s28
	s_and_not1_b32 exec_lo, exec_lo, s28
	s_cbranch_execz .LBB33_24
.LBB33_8:                               ; =>This Loop Header: Depth=1
                                        ;     Child Loop BB33_12 Depth 2
                                        ;       Child Loop BB33_15 Depth 3
	v_mov_b32_e32 v9, 0
	v_dual_mov_b32 v10, 0 :: v_dual_mov_b32 v11, 0
	v_mov_b32_e32 v12, 0
	s_and_not1_b32 vcc_lo, exec_lo, s30
	s_wait_alu 0xfffe
	s_cbranch_vccnz .LBB33_19
; %bb.9:                                ;   in Loop: Header=BB33_8 Depth=1
	v_mov_b32_e32 v9, 0
	v_dual_mov_b32 v10, 0 :: v_dual_mov_b32 v11, 0
	v_mov_b32_e32 v12, 0
	s_wait_dscnt 0x2
	v_dual_mov_b32 v22, v18 :: v_dual_mov_b32 v21, v17
	s_mov_b64 s[24:25], s[4:5]
	s_branch .LBB33_12
.LBB33_10:                              ;   in Loop: Header=BB33_12 Depth=2
	s_or_b32 exec_lo, exec_lo, s33
.LBB33_11:                              ;   in Loop: Header=BB33_12 Depth=2
	s_delay_alu instid0(SALU_CYCLE_1)
	s_or_b32 exec_lo, exec_lo, s31
	s_wait_alu 0xfffe
	s_add_nc_u64 s[24:25], s[24:25], 1
	v_add_co_u32 v21, vcc_lo, v21, s22
	s_wait_alu 0xfffe
	v_cmp_ge_i64_e64 s2, s[24:25], s[16:17]
	s_wait_alu 0xfffd
	v_add_co_ci_u32_e64 v22, null, s23, v22, vcc_lo
	s_and_b32 vcc_lo, exec_lo, s2
	s_wait_alu 0xfffe
	s_cbranch_vccnz .LBB33_19
.LBB33_12:                              ;   Parent Loop BB33_8 Depth=1
                                        ; =>  This Loop Header: Depth=2
                                        ;       Child Loop BB33_15 Depth 3
	s_and_saveexec_b32 s31, s0
	s_cbranch_execz .LBB33_11
; %bb.13:                               ;   in Loop: Header=BB33_12 Depth=2
	s_wait_alu 0xfffe
	s_lshl_b64 s[26:27], s[24:25], 3
	v_dual_mov_b32 v26, v16 :: v_dual_mov_b32 v25, v15
	s_wait_alu 0xfffe
	s_add_nc_u64 s[26:27], s[8:9], s[26:27]
	s_mov_b32 s33, 0
	s_load_b64 s[26:27], s[26:27], 0x0
	s_wait_kmcnt 0x0
	s_sub_nc_u64 s[26:27], s[26:27], s[12:13]
	s_wait_dscnt 0x0
	s_wait_alu 0xfffe
	v_mad_co_u64_u32 v[23:24], null, s18, s26, v[19:20]
	s_mul_i32 s2, s19, s26
	s_mul_i32 s26, s18, s27
	s_wait_alu 0xfffe
	v_add3_u32 v24, s26, s2, v24
	s_mul_u64 s[26:27], s[24:25], s[14:15]
	s_branch .LBB33_15
.LBB33_14:                              ;   in Loop: Header=BB33_15 Depth=3
	s_delay_alu instid0(VALU_DEP_1) | instskip(NEXT) | instid1(VALU_DEP_1)
	v_lshlrev_b64_e32 v[27:28], 4, v[27:28]
	v_add_co_u32 v27, vcc_lo, s10, v27
	s_wait_alu 0xfffd
	s_delay_alu instid0(VALU_DEP_2)
	v_add_co_ci_u32_e64 v28, null, s11, v28, vcc_lo
	v_add_co_u32 v25, vcc_lo, v25, 8
	global_load_b128 v[31:34], v[23:24], off offset:-8
	global_load_b128 v[35:38], v[27:28], off
	s_wait_alu 0xfffd
	v_add_co_ci_u32_e64 v26, null, 0, v26, vcc_lo
	v_add_co_u32 v23, s2, 0x80, v23
	s_wait_alu 0xf1ff
	v_add_co_ci_u32_e64 v24, null, 0, v24, s2
	s_delay_alu instid0(VALU_DEP_3) | instskip(SKIP_4) | instid1(VALU_DEP_2)
	v_cmp_le_i64_e32 vcc_lo, s[14:15], v[25:26]
	s_or_b32 s33, vcc_lo, s33
	s_wait_loadcnt 0x0
	v_fma_f64 v[11:12], v[35:36], v[31:32], v[11:12]
	v_fma_f64 v[9:10], v[37:38], v[31:32], v[9:10]
	v_fma_f64 v[11:12], -v[37:38], v[33:34], v[11:12]
	s_delay_alu instid0(VALU_DEP_2)
	v_fma_f64 v[9:10], v[35:36], v[33:34], v[9:10]
	s_and_not1_b32 exec_lo, exec_lo, s33
	s_cbranch_execz .LBB33_10
.LBB33_15:                              ;   Parent Loop BB33_8 Depth=1
                                        ;     Parent Loop BB33_12 Depth=2
                                        ; =>    This Inner Loop Header: Depth=3
	s_and_b32 vcc_lo, exec_lo, s29
	s_wait_alu 0xfffe
	s_cbranch_vccz .LBB33_17
; %bb.16:                               ;   in Loop: Header=BB33_15 Depth=3
	v_add_co_u32 v27, vcc_lo, v25, s26
	s_wait_alu 0xfffd
	v_add_co_ci_u32_e64 v28, null, s27, v26, vcc_lo
	s_delay_alu instid0(VALU_DEP_2) | instskip(NEXT) | instid1(VALU_DEP_2)
	v_mul_lo_u32 v31, v27, s15
	v_mul_lo_u32 v32, v28, s14
	v_mad_co_u64_u32 v[27:28], null, v27, s14, v[13:14]
	s_delay_alu instid0(VALU_DEP_1)
	v_add3_u32 v28, v32, v28, v31
	s_cbranch_execnz .LBB33_14
	s_branch .LBB33_18
.LBB33_17:                              ;   in Loop: Header=BB33_15 Depth=3
                                        ; implicit-def: $vgpr27_vgpr28
.LBB33_18:                              ;   in Loop: Header=BB33_15 Depth=3
	v_add_co_u32 v27, vcc_lo, v21, v25
	s_wait_alu 0xfffd
	v_add_co_ci_u32_e64 v28, null, v22, v26, vcc_lo
	s_branch .LBB33_14
.LBB33_19:                              ;   in Loop: Header=BB33_8 Depth=1
	s_wait_dscnt 0x3
	ds_bpermute_b32 v21, v0, v11
	s_wait_dscnt 0x3
	ds_bpermute_b32 v22, v0, v12
	;; [unrolled: 2-line block ×4, first 2 shown]
	s_wait_dscnt 0x2
	v_add_f64_e32 v[11:12], v[11:12], v[21:22]
	s_wait_dscnt 0x0
	v_add_f64_e32 v[21:22], v[9:10], v[23:24]
	ds_bpermute_b32 v9, v29, v11
	ds_bpermute_b32 v10, v29, v12
	;; [unrolled: 1-line block ×4, first 2 shown]
	s_wait_dscnt 0x2
	v_add_f64_e32 v[9:10], v[11:12], v[9:10]
	s_wait_dscnt 0x0
	v_add_f64_e32 v[11:12], v[21:22], v[23:24]
	ds_bpermute_b32 v21, v30, v9
	ds_bpermute_b32 v22, v30, v10
	;; [unrolled: 1-line block ×4, first 2 shown]
	s_and_saveexec_b32 s2, s1
	s_cbranch_execz .LBB33_7
; %bb.20:                               ;   in Loop: Header=BB33_8 Depth=1
	s_wait_dscnt 0x0
	v_add_f64_e32 v[11:12], v[11:12], v[23:24]
	v_add_f64_e32 v[21:22], v[9:10], v[21:22]
	s_delay_alu instid0(VALU_DEP_2) | instskip(SKIP_1) | instid1(VALU_DEP_2)
	v_mul_f64_e64 v[9:10], v[11:12], -v[3:4]
	v_mul_f64_e32 v[11:12], v[1:2], v[11:12]
	v_fma_f64 v[9:10], v[1:2], v[21:22], v[9:10]
	s_delay_alu instid0(VALU_DEP_2)
	v_fma_f64 v[11:12], v[3:4], v[21:22], v[11:12]
	v_lshlrev_b64_e32 v[21:22], 4, v[13:14]
	s_and_saveexec_b32 s24, s3
	s_wait_alu 0xfffe
	s_xor_b32 s24, exec_lo, s24
	s_cbranch_execz .LBB33_22
; %bb.21:                               ;   in Loop: Header=BB33_8 Depth=1
	s_delay_alu instid0(VALU_DEP_1)
	v_add_co_u32 v21, vcc_lo, s6, v21
	s_wait_alu 0xfffd
	v_add_co_ci_u32_e64 v22, null, s7, v22, vcc_lo
	global_store_b128 v[21:22], v[9:12], off
                                        ; implicit-def: $vgpr21_vgpr22
                                        ; implicit-def: $vgpr9_vgpr10
.LBB33_22:                              ;   in Loop: Header=BB33_8 Depth=1
	s_wait_alu 0xfffe
	s_and_not1_saveexec_b32 s24, s24
	s_cbranch_execz .LBB33_7
; %bb.23:                               ;   in Loop: Header=BB33_8 Depth=1
	v_add_co_u32 v25, vcc_lo, s6, v21
	s_wait_alu 0xfffd
	v_add_co_ci_u32_e64 v26, null, s7, v22, vcc_lo
	global_load_b128 v[21:24], v[25:26], off
	s_wait_loadcnt 0x0
	v_fma_f64 v[9:10], v[5:6], v[21:22], v[9:10]
	v_fma_f64 v[11:12], v[7:8], v[21:22], v[11:12]
	s_delay_alu instid0(VALU_DEP_2) | instskip(NEXT) | instid1(VALU_DEP_2)
	v_fma_f64 v[9:10], -v[7:8], v[23:24], v[9:10]
	v_fma_f64 v[11:12], v[5:6], v[23:24], v[11:12]
	global_store_b128 v[25:26], v[9:12], off
	s_branch .LBB33_7
.LBB33_24:
	s_endpgm
	.section	.rodata,"a",@progbits
	.p2align	6, 0x0
	.amdhsa_kernel _ZN9rocsparseL22bsrxmvn_general_kernelILj64ELj8E21rocsparse_complex_numIdEllS2_S2_S2_EEv20rocsparse_direction_NS_24const_host_device_scalarIT1_EET3_PKS7_PKT2_SC_S9_PKT4_S7_PKT5_S6_PT6_21rocsparse_index_base_b
		.amdhsa_group_segment_fixed_size 0
		.amdhsa_private_segment_fixed_size 0
		.amdhsa_kernarg_size 120
		.amdhsa_user_sgpr_count 2
		.amdhsa_user_sgpr_dispatch_ptr 0
		.amdhsa_user_sgpr_queue_ptr 0
		.amdhsa_user_sgpr_kernarg_segment_ptr 1
		.amdhsa_user_sgpr_dispatch_id 0
		.amdhsa_user_sgpr_private_segment_size 0
		.amdhsa_wavefront_size32 1
		.amdhsa_uses_dynamic_stack 0
		.amdhsa_enable_private_segment 0
		.amdhsa_system_sgpr_workgroup_id_x 1
		.amdhsa_system_sgpr_workgroup_id_y 0
		.amdhsa_system_sgpr_workgroup_id_z 0
		.amdhsa_system_sgpr_workgroup_info 0
		.amdhsa_system_vgpr_workitem_id 0
		.amdhsa_next_free_vgpr 39
		.amdhsa_next_free_sgpr 34
		.amdhsa_reserve_vcc 1
		.amdhsa_float_round_mode_32 0
		.amdhsa_float_round_mode_16_64 0
		.amdhsa_float_denorm_mode_32 3
		.amdhsa_float_denorm_mode_16_64 3
		.amdhsa_fp16_overflow 0
		.amdhsa_workgroup_processor_mode 1
		.amdhsa_memory_ordered 1
		.amdhsa_forward_progress 1
		.amdhsa_inst_pref_size 13
		.amdhsa_round_robin_scheduling 0
		.amdhsa_exception_fp_ieee_invalid_op 0
		.amdhsa_exception_fp_denorm_src 0
		.amdhsa_exception_fp_ieee_div_zero 0
		.amdhsa_exception_fp_ieee_overflow 0
		.amdhsa_exception_fp_ieee_underflow 0
		.amdhsa_exception_fp_ieee_inexact 0
		.amdhsa_exception_int_div_zero 0
	.end_amdhsa_kernel
	.section	.text._ZN9rocsparseL22bsrxmvn_general_kernelILj64ELj8E21rocsparse_complex_numIdEllS2_S2_S2_EEv20rocsparse_direction_NS_24const_host_device_scalarIT1_EET3_PKS7_PKT2_SC_S9_PKT4_S7_PKT5_S6_PT6_21rocsparse_index_base_b,"axG",@progbits,_ZN9rocsparseL22bsrxmvn_general_kernelILj64ELj8E21rocsparse_complex_numIdEllS2_S2_S2_EEv20rocsparse_direction_NS_24const_host_device_scalarIT1_EET3_PKS7_PKT2_SC_S9_PKT4_S7_PKT5_S6_PT6_21rocsparse_index_base_b,comdat
.Lfunc_end33:
	.size	_ZN9rocsparseL22bsrxmvn_general_kernelILj64ELj8E21rocsparse_complex_numIdEllS2_S2_S2_EEv20rocsparse_direction_NS_24const_host_device_scalarIT1_EET3_PKS7_PKT2_SC_S9_PKT4_S7_PKT5_S6_PT6_21rocsparse_index_base_b, .Lfunc_end33-_ZN9rocsparseL22bsrxmvn_general_kernelILj64ELj8E21rocsparse_complex_numIdEllS2_S2_S2_EEv20rocsparse_direction_NS_24const_host_device_scalarIT1_EET3_PKS7_PKT2_SC_S9_PKT4_S7_PKT5_S6_PT6_21rocsparse_index_base_b
                                        ; -- End function
	.set _ZN9rocsparseL22bsrxmvn_general_kernelILj64ELj8E21rocsparse_complex_numIdEllS2_S2_S2_EEv20rocsparse_direction_NS_24const_host_device_scalarIT1_EET3_PKS7_PKT2_SC_S9_PKT4_S7_PKT5_S6_PT6_21rocsparse_index_base_b.num_vgpr, 39
	.set _ZN9rocsparseL22bsrxmvn_general_kernelILj64ELj8E21rocsparse_complex_numIdEllS2_S2_S2_EEv20rocsparse_direction_NS_24const_host_device_scalarIT1_EET3_PKS7_PKT2_SC_S9_PKT4_S7_PKT5_S6_PT6_21rocsparse_index_base_b.num_agpr, 0
	.set _ZN9rocsparseL22bsrxmvn_general_kernelILj64ELj8E21rocsparse_complex_numIdEllS2_S2_S2_EEv20rocsparse_direction_NS_24const_host_device_scalarIT1_EET3_PKS7_PKT2_SC_S9_PKT4_S7_PKT5_S6_PT6_21rocsparse_index_base_b.numbered_sgpr, 34
	.set _ZN9rocsparseL22bsrxmvn_general_kernelILj64ELj8E21rocsparse_complex_numIdEllS2_S2_S2_EEv20rocsparse_direction_NS_24const_host_device_scalarIT1_EET3_PKS7_PKT2_SC_S9_PKT4_S7_PKT5_S6_PT6_21rocsparse_index_base_b.num_named_barrier, 0
	.set _ZN9rocsparseL22bsrxmvn_general_kernelILj64ELj8E21rocsparse_complex_numIdEllS2_S2_S2_EEv20rocsparse_direction_NS_24const_host_device_scalarIT1_EET3_PKS7_PKT2_SC_S9_PKT4_S7_PKT5_S6_PT6_21rocsparse_index_base_b.private_seg_size, 0
	.set _ZN9rocsparseL22bsrxmvn_general_kernelILj64ELj8E21rocsparse_complex_numIdEllS2_S2_S2_EEv20rocsparse_direction_NS_24const_host_device_scalarIT1_EET3_PKS7_PKT2_SC_S9_PKT4_S7_PKT5_S6_PT6_21rocsparse_index_base_b.uses_vcc, 1
	.set _ZN9rocsparseL22bsrxmvn_general_kernelILj64ELj8E21rocsparse_complex_numIdEllS2_S2_S2_EEv20rocsparse_direction_NS_24const_host_device_scalarIT1_EET3_PKS7_PKT2_SC_S9_PKT4_S7_PKT5_S6_PT6_21rocsparse_index_base_b.uses_flat_scratch, 0
	.set _ZN9rocsparseL22bsrxmvn_general_kernelILj64ELj8E21rocsparse_complex_numIdEllS2_S2_S2_EEv20rocsparse_direction_NS_24const_host_device_scalarIT1_EET3_PKS7_PKT2_SC_S9_PKT4_S7_PKT5_S6_PT6_21rocsparse_index_base_b.has_dyn_sized_stack, 0
	.set _ZN9rocsparseL22bsrxmvn_general_kernelILj64ELj8E21rocsparse_complex_numIdEllS2_S2_S2_EEv20rocsparse_direction_NS_24const_host_device_scalarIT1_EET3_PKS7_PKT2_SC_S9_PKT4_S7_PKT5_S6_PT6_21rocsparse_index_base_b.has_recursion, 0
	.set _ZN9rocsparseL22bsrxmvn_general_kernelILj64ELj8E21rocsparse_complex_numIdEllS2_S2_S2_EEv20rocsparse_direction_NS_24const_host_device_scalarIT1_EET3_PKS7_PKT2_SC_S9_PKT4_S7_PKT5_S6_PT6_21rocsparse_index_base_b.has_indirect_call, 0
	.section	.AMDGPU.csdata,"",@progbits
; Kernel info:
; codeLenInByte = 1600
; TotalNumSgprs: 36
; NumVgprs: 39
; ScratchSize: 0
; MemoryBound: 0
; FloatMode: 240
; IeeeMode: 1
; LDSByteSize: 0 bytes/workgroup (compile time only)
; SGPRBlocks: 0
; VGPRBlocks: 4
; NumSGPRsForWavesPerEU: 36
; NumVGPRsForWavesPerEU: 39
; Occupancy: 16
; WaveLimiterHint : 0
; COMPUTE_PGM_RSRC2:SCRATCH_EN: 0
; COMPUTE_PGM_RSRC2:USER_SGPR: 2
; COMPUTE_PGM_RSRC2:TRAP_HANDLER: 0
; COMPUTE_PGM_RSRC2:TGID_X_EN: 1
; COMPUTE_PGM_RSRC2:TGID_Y_EN: 0
; COMPUTE_PGM_RSRC2:TGID_Z_EN: 0
; COMPUTE_PGM_RSRC2:TIDIG_COMP_CNT: 0
	.section	.text._ZN9rocsparseL22bsrxmvn_general_kernelILj256ELj16E21rocsparse_complex_numIdEllS2_S2_S2_EEv20rocsparse_direction_NS_24const_host_device_scalarIT1_EET3_PKS7_PKT2_SC_S9_PKT4_S7_PKT5_S6_PT6_21rocsparse_index_base_b,"axG",@progbits,_ZN9rocsparseL22bsrxmvn_general_kernelILj256ELj16E21rocsparse_complex_numIdEllS2_S2_S2_EEv20rocsparse_direction_NS_24const_host_device_scalarIT1_EET3_PKS7_PKT2_SC_S9_PKT4_S7_PKT5_S6_PT6_21rocsparse_index_base_b,comdat
	.globl	_ZN9rocsparseL22bsrxmvn_general_kernelILj256ELj16E21rocsparse_complex_numIdEllS2_S2_S2_EEv20rocsparse_direction_NS_24const_host_device_scalarIT1_EET3_PKS7_PKT2_SC_S9_PKT4_S7_PKT5_S6_PT6_21rocsparse_index_base_b ; -- Begin function _ZN9rocsparseL22bsrxmvn_general_kernelILj256ELj16E21rocsparse_complex_numIdEllS2_S2_S2_EEv20rocsparse_direction_NS_24const_host_device_scalarIT1_EET3_PKS7_PKT2_SC_S9_PKT4_S7_PKT5_S6_PT6_21rocsparse_index_base_b
	.p2align	8
	.type	_ZN9rocsparseL22bsrxmvn_general_kernelILj256ELj16E21rocsparse_complex_numIdEllS2_S2_S2_EEv20rocsparse_direction_NS_24const_host_device_scalarIT1_EET3_PKS7_PKT2_SC_S9_PKT4_S7_PKT5_S6_PT6_21rocsparse_index_base_b,@function
_ZN9rocsparseL22bsrxmvn_general_kernelILj256ELj16E21rocsparse_complex_numIdEllS2_S2_S2_EEv20rocsparse_direction_NS_24const_host_device_scalarIT1_EET3_PKS7_PKT2_SC_S9_PKT4_S7_PKT5_S6_PT6_21rocsparse_index_base_b: ; @_ZN9rocsparseL22bsrxmvn_general_kernelILj256ELj16E21rocsparse_complex_numIdEllS2_S2_S2_EEv20rocsparse_direction_NS_24const_host_device_scalarIT1_EET3_PKS7_PKT2_SC_S9_PKT4_S7_PKT5_S6_PT6_21rocsparse_index_base_b
; %bb.0:
	s_clause 0x1
	s_load_b64 s[12:13], s[0:1], 0x70
	s_load_b64 s[2:3], s[0:1], 0x8
	s_add_nc_u64 s[4:5], s[0:1], 8
	s_load_b64 s[6:7], s[0:1], 0x58
	s_wait_kmcnt 0x0
	s_bitcmp1_b32 s13, 0
	s_cselect_b32 s2, s4, s2
	s_cselect_b32 s3, s5, s3
	s_delay_alu instid0(SALU_CYCLE_1)
	v_dual_mov_b32 v1, s2 :: v_dual_mov_b32 v2, s3
	s_add_nc_u64 s[2:3], s[0:1], 0x58
	s_wait_alu 0xfffe
	s_cselect_b32 s2, s2, s6
	s_cselect_b32 s3, s3, s7
	flat_load_b128 v[1:4], v[1:2]
	s_wait_alu 0xfffe
	v_dual_mov_b32 v5, s2 :: v_dual_mov_b32 v6, s3
	flat_load_b128 v[5:8], v[5:6]
	s_wait_loadcnt_dscnt 0x101
	v_cmp_eq_f64_e32 vcc_lo, 0, v[1:2]
	v_cmp_eq_f64_e64 s2, 0, v[3:4]
	s_and_b32 s4, vcc_lo, s2
	s_mov_b32 s2, -1
	s_and_saveexec_b32 s3, s4
	s_cbranch_execz .LBB34_2
; %bb.1:
	s_wait_loadcnt_dscnt 0x0
	v_cmp_neq_f64_e32 vcc_lo, 1.0, v[5:6]
	v_cmp_neq_f64_e64 s2, 0, v[7:8]
	s_wait_alu 0xfffe
	s_or_b32 s2, vcc_lo, s2
	s_wait_alu 0xfffe
	s_or_not1_b32 s2, s2, exec_lo
.LBB34_2:
	s_wait_alu 0xfffe
	s_or_b32 exec_lo, exec_lo, s3
	s_and_saveexec_b32 s3, s2
	s_cbranch_execz .LBB34_24
; %bb.3:
	s_load_b64 s[2:3], s[0:1], 0x20
	s_mov_b32 s19, 0
	s_mov_b32 s18, ttmp9
	s_mov_b32 s13, s19
	s_wait_kmcnt 0x0
	s_cmp_eq_u64 s[2:3], 0
	s_cbranch_scc1 .LBB34_5
; %bb.4:
	s_lshl_b64 s[4:5], s[18:19], 3
	s_delay_alu instid0(SALU_CYCLE_1)
	s_add_nc_u64 s[2:3], s[2:3], s[4:5]
	s_load_b64 s[2:3], s[2:3], 0x0
	s_wait_kmcnt 0x0
	s_sub_nc_u64 s[18:19], s[2:3], s[12:13]
.LBB34_5:
	s_load_b64 s[14:15], s[0:1], 0x48
	v_lshrrev_b32_e32 v13, 4, v0
	v_mov_b32_e32 v14, 0
	s_wait_kmcnt 0x0
	s_delay_alu instid0(VALU_DEP_1)
	v_cmp_gt_i64_e32 vcc_lo, s[14:15], v[13:14]
	s_and_b32 exec_lo, exec_lo, vcc_lo
	s_cbranch_execz .LBB34_24
; %bb.6:
	s_clause 0x2
	s_load_b256 s[4:11], s[0:1], 0x28
	s_load_b64 s[20:21], s[0:1], 0x50
	s_load_b64 s[16:17], s[0:1], 0x68
	v_dual_mov_b32 v16, v14 :: v_dual_and_b32 v15, 15, v0
	v_mbcnt_lo_u32_b32 v0, -1, 0
	s_lshl_b64 s[22:23], s[18:19], 3
	s_wait_loadcnt_dscnt 0x0
	v_cmp_eq_f64_e32 vcc_lo, 0, v[5:6]
	v_cmp_eq_f64_e64 s2, 0, v[7:8]
	s_load_b32 s27, s[0:1], 0x0
	v_xor_b32_e32 v9, 8, v0
	v_xor_b32_e32 v10, 4, v0
	;; [unrolled: 1-line block ×4, first 2 shown]
	v_lshlrev_b32_e32 v17, 4, v15
	v_cmp_gt_i32_e64 s3, 32, v9
	s_mul_u64 s[18:19], s[18:19], s[14:15]
	v_cmp_gt_u64_e64 s0, s[14:15], v[15:16]
	v_cmp_eq_u32_e64 s1, 15, v15
	s_mov_b32 s26, 0
	s_wait_kmcnt 0x0
	s_add_nc_u64 s[4:5], s[4:5], s[22:23]
	v_cndmask_b32_e64 v9, v0, v9, s3
	s_load_b64 s[24:25], s[4:5], 0x0
	v_cmp_gt_i32_e64 s3, 32, v10
	s_add_nc_u64 s[22:23], s[6:7], s[22:23]
	s_cmp_eq_u64 s[6:7], 0
	s_add_nc_u64 s[4:5], s[4:5], 8
	s_wait_alu 0xf1ff
	v_cndmask_b32_e64 v10, v0, v10, s3
	v_cmp_gt_i32_e64 s3, 32, v11
	s_cselect_b32 s7, s5, s23
	s_cselect_b32 s6, s4, s22
	s_cmp_lg_u32 s27, 0
	v_lshlrev_b32_e32 v29, 2, v10
	s_wait_alu 0xf1ff
	v_cndmask_b32_e64 v11, v0, v11, s3
	v_cmp_gt_i32_e64 s3, 32, v12
	s_load_b64 s[22:23], s[6:7], 0x0
	v_lshlrev_b32_e32 v30, 2, v11
	v_cndmask_b32_e64 v12, v0, v12, s3
	v_lshlrev_b32_e32 v0, 2, v9
	s_wait_kmcnt 0x0
	s_sub_nc_u64 s[4:5], s[24:25], s[12:13]
	v_add_co_u32 v11, s7, s20, v17
	v_mad_co_u64_u32 v[9:10], null, s14, s4, v[13:14]
	s_mul_i32 s3, s15, s4
	s_mul_i32 s6, s14, s5
	v_lshlrev_b32_e32 v31, 2, v12
	v_add_co_ci_u32_e64 v12, null, s21, 0, s7
	s_mul_u64 s[20:21], s[14:15], s[14:15]
	s_wait_alu 0xfffe
	v_add3_u32 v10, s6, s3, v10
	v_mul_lo_u32 v21, s15, v9
	v_mad_co_u64_u32 v[17:18], null, s14, v9, 0
	v_add_co_u32 v19, s3, v11, 8
	s_delay_alu instid0(VALU_DEP_4)
	v_mul_lo_u32 v9, s14, v10
	v_cmp_lt_i64_e64 s28, s[24:25], s[22:23]
	s_wait_alu 0xf1ff
	v_add_co_ci_u32_e64 v20, null, 0, v12, s3
	s_cselect_b32 s3, -1, 0
	s_lshl_b64 s[18:19], s[18:19], 4
	s_and_b32 s27, vcc_lo, s2
	s_sub_nc_u64 s[6:7], s[22:23], s[12:13]
	v_add3_u32 v18, v18, v9, v21
	s_add_nc_u64 s[16:17], s[16:17], s[18:19]
	s_lshl_b64 s[18:19], s[14:15], 4
	s_branch .LBB34_8
.LBB34_7:                               ;   in Loop: Header=BB34_8 Depth=1
	s_wait_alu 0xfffe
	s_or_b32 exec_lo, exec_lo, s2
	v_add_co_u32 v13, vcc_lo, v13, 16
	s_wait_alu 0xfffd
	v_add_co_ci_u32_e64 v14, null, 0, v14, vcc_lo
	v_add_co_u32 v17, s2, v17, s18
	s_wait_alu 0xf1ff
	v_add_co_ci_u32_e64 v18, null, s19, v18, s2
	s_delay_alu instid0(VALU_DEP_3) | instskip(SKIP_1) | instid1(SALU_CYCLE_1)
	v_cmp_le_i64_e32 vcc_lo, s[14:15], v[13:14]
	s_or_b32 s26, vcc_lo, s26
	s_and_not1_b32 exec_lo, exec_lo, s26
	s_cbranch_execz .LBB34_24
.LBB34_8:                               ; =>This Loop Header: Depth=1
                                        ;     Child Loop BB34_12 Depth 2
                                        ;       Child Loop BB34_15 Depth 3
	v_mov_b32_e32 v9, 0
	v_dual_mov_b32 v10, 0 :: v_dual_mov_b32 v11, 0
	v_mov_b32_e32 v12, 0
	s_and_not1_b32 vcc_lo, exec_lo, s28
	s_wait_alu 0xfffe
	s_cbranch_vccnz .LBB34_19
; %bb.9:                                ;   in Loop: Header=BB34_8 Depth=1
	v_mov_b32_e32 v9, 0
	v_dual_mov_b32 v10, 0 :: v_dual_mov_b32 v11, 0
	v_mov_b32_e32 v12, 0
	s_wait_dscnt 0x2
	v_dual_mov_b32 v22, v18 :: v_dual_mov_b32 v21, v17
	s_mov_b64 s[22:23], s[4:5]
	s_branch .LBB34_12
.LBB34_10:                              ;   in Loop: Header=BB34_12 Depth=2
	s_or_b32 exec_lo, exec_lo, s30
.LBB34_11:                              ;   in Loop: Header=BB34_12 Depth=2
	s_delay_alu instid0(SALU_CYCLE_1)
	s_or_b32 exec_lo, exec_lo, s29
	s_wait_alu 0xfffe
	s_add_nc_u64 s[22:23], s[22:23], 1
	v_add_co_u32 v21, vcc_lo, v21, s20
	s_wait_alu 0xfffe
	v_cmp_ge_i64_e64 s2, s[22:23], s[6:7]
	s_wait_alu 0xfffd
	v_add_co_ci_u32_e64 v22, null, s21, v22, vcc_lo
	s_and_b32 vcc_lo, exec_lo, s2
	s_wait_alu 0xfffe
	s_cbranch_vccnz .LBB34_19
.LBB34_12:                              ;   Parent Loop BB34_8 Depth=1
                                        ; =>  This Loop Header: Depth=2
                                        ;       Child Loop BB34_15 Depth 3
	s_and_saveexec_b32 s29, s0
	s_cbranch_execz .LBB34_11
; %bb.13:                               ;   in Loop: Header=BB34_12 Depth=2
	s_wait_alu 0xfffe
	s_lshl_b64 s[24:25], s[22:23], 3
	v_dual_mov_b32 v26, v16 :: v_dual_mov_b32 v25, v15
	s_wait_alu 0xfffe
	s_add_nc_u64 s[24:25], s[8:9], s[24:25]
	s_mov_b32 s30, 0
	s_load_b64 s[24:25], s[24:25], 0x0
	s_wait_kmcnt 0x0
	s_sub_nc_u64 s[24:25], s[24:25], s[12:13]
	s_wait_dscnt 0x0
	s_wait_alu 0xfffe
	v_mad_co_u64_u32 v[23:24], null, s18, s24, v[19:20]
	s_mul_i32 s2, s19, s24
	s_mul_i32 s24, s18, s25
	s_wait_alu 0xfffe
	v_add3_u32 v24, s24, s2, v24
	s_mul_u64 s[24:25], s[22:23], s[14:15]
	s_branch .LBB34_15
.LBB34_14:                              ;   in Loop: Header=BB34_15 Depth=3
	s_delay_alu instid0(VALU_DEP_1) | instskip(NEXT) | instid1(VALU_DEP_1)
	v_lshlrev_b64_e32 v[27:28], 4, v[27:28]
	v_add_co_u32 v27, vcc_lo, s10, v27
	s_wait_alu 0xfffd
	s_delay_alu instid0(VALU_DEP_2)
	v_add_co_ci_u32_e64 v28, null, s11, v28, vcc_lo
	v_add_co_u32 v25, vcc_lo, v25, 16
	global_load_b128 v[32:35], v[23:24], off offset:-8
	global_load_b128 v[36:39], v[27:28], off
	s_wait_alu 0xfffd
	v_add_co_ci_u32_e64 v26, null, 0, v26, vcc_lo
	v_add_co_u32 v23, s2, 0x100, v23
	s_wait_alu 0xf1ff
	v_add_co_ci_u32_e64 v24, null, 0, v24, s2
	s_delay_alu instid0(VALU_DEP_3) | instskip(SKIP_4) | instid1(VALU_DEP_2)
	v_cmp_le_i64_e32 vcc_lo, s[14:15], v[25:26]
	s_or_b32 s30, vcc_lo, s30
	s_wait_loadcnt 0x0
	v_fma_f64 v[11:12], v[36:37], v[32:33], v[11:12]
	v_fma_f64 v[9:10], v[38:39], v[32:33], v[9:10]
	v_fma_f64 v[11:12], -v[38:39], v[34:35], v[11:12]
	s_delay_alu instid0(VALU_DEP_2)
	v_fma_f64 v[9:10], v[36:37], v[34:35], v[9:10]
	s_and_not1_b32 exec_lo, exec_lo, s30
	s_cbranch_execz .LBB34_10
.LBB34_15:                              ;   Parent Loop BB34_8 Depth=1
                                        ;     Parent Loop BB34_12 Depth=2
                                        ; =>    This Inner Loop Header: Depth=3
	s_and_b32 vcc_lo, exec_lo, s3
	s_wait_alu 0xfffe
	s_cbranch_vccz .LBB34_17
; %bb.16:                               ;   in Loop: Header=BB34_15 Depth=3
	v_add_co_u32 v27, vcc_lo, v25, s24
	s_wait_alu 0xfffd
	v_add_co_ci_u32_e64 v28, null, s25, v26, vcc_lo
	s_delay_alu instid0(VALU_DEP_2) | instskip(NEXT) | instid1(VALU_DEP_2)
	v_mul_lo_u32 v32, v27, s15
	v_mul_lo_u32 v33, v28, s14
	v_mad_co_u64_u32 v[27:28], null, v27, s14, v[13:14]
	s_delay_alu instid0(VALU_DEP_1)
	v_add3_u32 v28, v33, v28, v32
	s_cbranch_execnz .LBB34_14
	s_branch .LBB34_18
.LBB34_17:                              ;   in Loop: Header=BB34_15 Depth=3
                                        ; implicit-def: $vgpr27_vgpr28
.LBB34_18:                              ;   in Loop: Header=BB34_15 Depth=3
	v_add_co_u32 v27, vcc_lo, v21, v25
	s_wait_alu 0xfffd
	v_add_co_ci_u32_e64 v28, null, v22, v26, vcc_lo
	s_branch .LBB34_14
.LBB34_19:                              ;   in Loop: Header=BB34_8 Depth=1
	s_wait_dscnt 0x3
	ds_bpermute_b32 v21, v0, v11
	s_wait_dscnt 0x3
	ds_bpermute_b32 v22, v0, v12
	;; [unrolled: 2-line block ×4, first 2 shown]
	s_wait_dscnt 0x2
	v_add_f64_e32 v[11:12], v[11:12], v[21:22]
	s_wait_dscnt 0x0
	v_add_f64_e32 v[9:10], v[9:10], v[23:24]
	ds_bpermute_b32 v21, v29, v11
	ds_bpermute_b32 v22, v29, v12
	ds_bpermute_b32 v23, v29, v9
	ds_bpermute_b32 v24, v29, v10
	s_wait_dscnt 0x2
	v_add_f64_e32 v[11:12], v[11:12], v[21:22]
	s_wait_dscnt 0x0
	v_add_f64_e32 v[21:22], v[9:10], v[23:24]
	ds_bpermute_b32 v9, v30, v11
	ds_bpermute_b32 v10, v30, v12
	ds_bpermute_b32 v23, v30, v21
	ds_bpermute_b32 v24, v30, v22
	;; [unrolled: 8-line block ×3, first 2 shown]
	s_and_saveexec_b32 s2, s1
	s_cbranch_execz .LBB34_7
; %bb.20:                               ;   in Loop: Header=BB34_8 Depth=1
	s_wait_dscnt 0x0
	v_add_f64_e32 v[11:12], v[11:12], v[23:24]
	v_add_f64_e32 v[21:22], v[9:10], v[21:22]
	s_delay_alu instid0(VALU_DEP_2) | instskip(SKIP_1) | instid1(VALU_DEP_2)
	v_mul_f64_e64 v[9:10], v[11:12], -v[3:4]
	v_mul_f64_e32 v[11:12], v[1:2], v[11:12]
	v_fma_f64 v[9:10], v[1:2], v[21:22], v[9:10]
	s_delay_alu instid0(VALU_DEP_2)
	v_fma_f64 v[11:12], v[3:4], v[21:22], v[11:12]
	v_lshlrev_b64_e32 v[21:22], 4, v[13:14]
	s_and_saveexec_b32 s22, s27
	s_wait_alu 0xfffe
	s_xor_b32 s22, exec_lo, s22
	s_cbranch_execz .LBB34_22
; %bb.21:                               ;   in Loop: Header=BB34_8 Depth=1
	s_delay_alu instid0(VALU_DEP_1)
	v_add_co_u32 v21, vcc_lo, s16, v21
	s_wait_alu 0xfffd
	v_add_co_ci_u32_e64 v22, null, s17, v22, vcc_lo
	global_store_b128 v[21:22], v[9:12], off
                                        ; implicit-def: $vgpr21_vgpr22
                                        ; implicit-def: $vgpr9_vgpr10
.LBB34_22:                              ;   in Loop: Header=BB34_8 Depth=1
	s_wait_alu 0xfffe
	s_and_not1_saveexec_b32 s22, s22
	s_cbranch_execz .LBB34_7
; %bb.23:                               ;   in Loop: Header=BB34_8 Depth=1
	v_add_co_u32 v25, vcc_lo, s16, v21
	s_wait_alu 0xfffd
	v_add_co_ci_u32_e64 v26, null, s17, v22, vcc_lo
	global_load_b128 v[21:24], v[25:26], off
	s_wait_loadcnt 0x0
	v_fma_f64 v[9:10], v[5:6], v[21:22], v[9:10]
	v_fma_f64 v[11:12], v[7:8], v[21:22], v[11:12]
	s_delay_alu instid0(VALU_DEP_2) | instskip(NEXT) | instid1(VALU_DEP_2)
	v_fma_f64 v[9:10], -v[7:8], v[23:24], v[9:10]
	v_fma_f64 v[11:12], v[5:6], v[23:24], v[11:12]
	global_store_b128 v[25:26], v[9:12], off
	s_branch .LBB34_7
.LBB34_24:
	s_endpgm
	.section	.rodata,"a",@progbits
	.p2align	6, 0x0
	.amdhsa_kernel _ZN9rocsparseL22bsrxmvn_general_kernelILj256ELj16E21rocsparse_complex_numIdEllS2_S2_S2_EEv20rocsparse_direction_NS_24const_host_device_scalarIT1_EET3_PKS7_PKT2_SC_S9_PKT4_S7_PKT5_S6_PT6_21rocsparse_index_base_b
		.amdhsa_group_segment_fixed_size 0
		.amdhsa_private_segment_fixed_size 0
		.amdhsa_kernarg_size 120
		.amdhsa_user_sgpr_count 2
		.amdhsa_user_sgpr_dispatch_ptr 0
		.amdhsa_user_sgpr_queue_ptr 0
		.amdhsa_user_sgpr_kernarg_segment_ptr 1
		.amdhsa_user_sgpr_dispatch_id 0
		.amdhsa_user_sgpr_private_segment_size 0
		.amdhsa_wavefront_size32 1
		.amdhsa_uses_dynamic_stack 0
		.amdhsa_enable_private_segment 0
		.amdhsa_system_sgpr_workgroup_id_x 1
		.amdhsa_system_sgpr_workgroup_id_y 0
		.amdhsa_system_sgpr_workgroup_id_z 0
		.amdhsa_system_sgpr_workgroup_info 0
		.amdhsa_system_vgpr_workitem_id 0
		.amdhsa_next_free_vgpr 40
		.amdhsa_next_free_sgpr 31
		.amdhsa_reserve_vcc 1
		.amdhsa_float_round_mode_32 0
		.amdhsa_float_round_mode_16_64 0
		.amdhsa_float_denorm_mode_32 3
		.amdhsa_float_denorm_mode_16_64 3
		.amdhsa_fp16_overflow 0
		.amdhsa_workgroup_processor_mode 1
		.amdhsa_memory_ordered 1
		.amdhsa_forward_progress 1
		.amdhsa_inst_pref_size 13
		.amdhsa_round_robin_scheduling 0
		.amdhsa_exception_fp_ieee_invalid_op 0
		.amdhsa_exception_fp_denorm_src 0
		.amdhsa_exception_fp_ieee_div_zero 0
		.amdhsa_exception_fp_ieee_overflow 0
		.amdhsa_exception_fp_ieee_underflow 0
		.amdhsa_exception_fp_ieee_inexact 0
		.amdhsa_exception_int_div_zero 0
	.end_amdhsa_kernel
	.section	.text._ZN9rocsparseL22bsrxmvn_general_kernelILj256ELj16E21rocsparse_complex_numIdEllS2_S2_S2_EEv20rocsparse_direction_NS_24const_host_device_scalarIT1_EET3_PKS7_PKT2_SC_S9_PKT4_S7_PKT5_S6_PT6_21rocsparse_index_base_b,"axG",@progbits,_ZN9rocsparseL22bsrxmvn_general_kernelILj256ELj16E21rocsparse_complex_numIdEllS2_S2_S2_EEv20rocsparse_direction_NS_24const_host_device_scalarIT1_EET3_PKS7_PKT2_SC_S9_PKT4_S7_PKT5_S6_PT6_21rocsparse_index_base_b,comdat
.Lfunc_end34:
	.size	_ZN9rocsparseL22bsrxmvn_general_kernelILj256ELj16E21rocsparse_complex_numIdEllS2_S2_S2_EEv20rocsparse_direction_NS_24const_host_device_scalarIT1_EET3_PKS7_PKT2_SC_S9_PKT4_S7_PKT5_S6_PT6_21rocsparse_index_base_b, .Lfunc_end34-_ZN9rocsparseL22bsrxmvn_general_kernelILj256ELj16E21rocsparse_complex_numIdEllS2_S2_S2_EEv20rocsparse_direction_NS_24const_host_device_scalarIT1_EET3_PKS7_PKT2_SC_S9_PKT4_S7_PKT5_S6_PT6_21rocsparse_index_base_b
                                        ; -- End function
	.set _ZN9rocsparseL22bsrxmvn_general_kernelILj256ELj16E21rocsparse_complex_numIdEllS2_S2_S2_EEv20rocsparse_direction_NS_24const_host_device_scalarIT1_EET3_PKS7_PKT2_SC_S9_PKT4_S7_PKT5_S6_PT6_21rocsparse_index_base_b.num_vgpr, 40
	.set _ZN9rocsparseL22bsrxmvn_general_kernelILj256ELj16E21rocsparse_complex_numIdEllS2_S2_S2_EEv20rocsparse_direction_NS_24const_host_device_scalarIT1_EET3_PKS7_PKT2_SC_S9_PKT4_S7_PKT5_S6_PT6_21rocsparse_index_base_b.num_agpr, 0
	.set _ZN9rocsparseL22bsrxmvn_general_kernelILj256ELj16E21rocsparse_complex_numIdEllS2_S2_S2_EEv20rocsparse_direction_NS_24const_host_device_scalarIT1_EET3_PKS7_PKT2_SC_S9_PKT4_S7_PKT5_S6_PT6_21rocsparse_index_base_b.numbered_sgpr, 31
	.set _ZN9rocsparseL22bsrxmvn_general_kernelILj256ELj16E21rocsparse_complex_numIdEllS2_S2_S2_EEv20rocsparse_direction_NS_24const_host_device_scalarIT1_EET3_PKS7_PKT2_SC_S9_PKT4_S7_PKT5_S6_PT6_21rocsparse_index_base_b.num_named_barrier, 0
	.set _ZN9rocsparseL22bsrxmvn_general_kernelILj256ELj16E21rocsparse_complex_numIdEllS2_S2_S2_EEv20rocsparse_direction_NS_24const_host_device_scalarIT1_EET3_PKS7_PKT2_SC_S9_PKT4_S7_PKT5_S6_PT6_21rocsparse_index_base_b.private_seg_size, 0
	.set _ZN9rocsparseL22bsrxmvn_general_kernelILj256ELj16E21rocsparse_complex_numIdEllS2_S2_S2_EEv20rocsparse_direction_NS_24const_host_device_scalarIT1_EET3_PKS7_PKT2_SC_S9_PKT4_S7_PKT5_S6_PT6_21rocsparse_index_base_b.uses_vcc, 1
	.set _ZN9rocsparseL22bsrxmvn_general_kernelILj256ELj16E21rocsparse_complex_numIdEllS2_S2_S2_EEv20rocsparse_direction_NS_24const_host_device_scalarIT1_EET3_PKS7_PKT2_SC_S9_PKT4_S7_PKT5_S6_PT6_21rocsparse_index_base_b.uses_flat_scratch, 0
	.set _ZN9rocsparseL22bsrxmvn_general_kernelILj256ELj16E21rocsparse_complex_numIdEllS2_S2_S2_EEv20rocsparse_direction_NS_24const_host_device_scalarIT1_EET3_PKS7_PKT2_SC_S9_PKT4_S7_PKT5_S6_PT6_21rocsparse_index_base_b.has_dyn_sized_stack, 0
	.set _ZN9rocsparseL22bsrxmvn_general_kernelILj256ELj16E21rocsparse_complex_numIdEllS2_S2_S2_EEv20rocsparse_direction_NS_24const_host_device_scalarIT1_EET3_PKS7_PKT2_SC_S9_PKT4_S7_PKT5_S6_PT6_21rocsparse_index_base_b.has_recursion, 0
	.set _ZN9rocsparseL22bsrxmvn_general_kernelILj256ELj16E21rocsparse_complex_numIdEllS2_S2_S2_EEv20rocsparse_direction_NS_24const_host_device_scalarIT1_EET3_PKS7_PKT2_SC_S9_PKT4_S7_PKT5_S6_PT6_21rocsparse_index_base_b.has_indirect_call, 0
	.section	.AMDGPU.csdata,"",@progbits
; Kernel info:
; codeLenInByte = 1656
; TotalNumSgprs: 33
; NumVgprs: 40
; ScratchSize: 0
; MemoryBound: 0
; FloatMode: 240
; IeeeMode: 1
; LDSByteSize: 0 bytes/workgroup (compile time only)
; SGPRBlocks: 0
; VGPRBlocks: 4
; NumSGPRsForWavesPerEU: 33
; NumVGPRsForWavesPerEU: 40
; Occupancy: 16
; WaveLimiterHint : 0
; COMPUTE_PGM_RSRC2:SCRATCH_EN: 0
; COMPUTE_PGM_RSRC2:USER_SGPR: 2
; COMPUTE_PGM_RSRC2:TRAP_HANDLER: 0
; COMPUTE_PGM_RSRC2:TGID_X_EN: 1
; COMPUTE_PGM_RSRC2:TGID_Y_EN: 0
; COMPUTE_PGM_RSRC2:TGID_Z_EN: 0
; COMPUTE_PGM_RSRC2:TIDIG_COMP_CNT: 0
	.section	.text._ZN9rocsparseL22bsrxmvn_general_kernelILj1024ELj32E21rocsparse_complex_numIdEllS2_S2_S2_EEv20rocsparse_direction_NS_24const_host_device_scalarIT1_EET3_PKS7_PKT2_SC_S9_PKT4_S7_PKT5_S6_PT6_21rocsparse_index_base_b,"axG",@progbits,_ZN9rocsparseL22bsrxmvn_general_kernelILj1024ELj32E21rocsparse_complex_numIdEllS2_S2_S2_EEv20rocsparse_direction_NS_24const_host_device_scalarIT1_EET3_PKS7_PKT2_SC_S9_PKT4_S7_PKT5_S6_PT6_21rocsparse_index_base_b,comdat
	.globl	_ZN9rocsparseL22bsrxmvn_general_kernelILj1024ELj32E21rocsparse_complex_numIdEllS2_S2_S2_EEv20rocsparse_direction_NS_24const_host_device_scalarIT1_EET3_PKS7_PKT2_SC_S9_PKT4_S7_PKT5_S6_PT6_21rocsparse_index_base_b ; -- Begin function _ZN9rocsparseL22bsrxmvn_general_kernelILj1024ELj32E21rocsparse_complex_numIdEllS2_S2_S2_EEv20rocsparse_direction_NS_24const_host_device_scalarIT1_EET3_PKS7_PKT2_SC_S9_PKT4_S7_PKT5_S6_PT6_21rocsparse_index_base_b
	.p2align	8
	.type	_ZN9rocsparseL22bsrxmvn_general_kernelILj1024ELj32E21rocsparse_complex_numIdEllS2_S2_S2_EEv20rocsparse_direction_NS_24const_host_device_scalarIT1_EET3_PKS7_PKT2_SC_S9_PKT4_S7_PKT5_S6_PT6_21rocsparse_index_base_b,@function
_ZN9rocsparseL22bsrxmvn_general_kernelILj1024ELj32E21rocsparse_complex_numIdEllS2_S2_S2_EEv20rocsparse_direction_NS_24const_host_device_scalarIT1_EET3_PKS7_PKT2_SC_S9_PKT4_S7_PKT5_S6_PT6_21rocsparse_index_base_b: ; @_ZN9rocsparseL22bsrxmvn_general_kernelILj1024ELj32E21rocsparse_complex_numIdEllS2_S2_S2_EEv20rocsparse_direction_NS_24const_host_device_scalarIT1_EET3_PKS7_PKT2_SC_S9_PKT4_S7_PKT5_S6_PT6_21rocsparse_index_base_b
; %bb.0:
	s_clause 0x1
	s_load_b64 s[12:13], s[0:1], 0x70
	s_load_b64 s[2:3], s[0:1], 0x8
	s_add_nc_u64 s[4:5], s[0:1], 8
	s_load_b64 s[6:7], s[0:1], 0x58
	s_wait_kmcnt 0x0
	s_bitcmp1_b32 s13, 0
	s_cselect_b32 s2, s4, s2
	s_cselect_b32 s3, s5, s3
	s_delay_alu instid0(SALU_CYCLE_1)
	v_dual_mov_b32 v1, s2 :: v_dual_mov_b32 v2, s3
	s_add_nc_u64 s[2:3], s[0:1], 0x58
	s_wait_alu 0xfffe
	s_cselect_b32 s2, s2, s6
	s_cselect_b32 s3, s3, s7
	flat_load_b128 v[1:4], v[1:2]
	s_wait_alu 0xfffe
	v_dual_mov_b32 v5, s2 :: v_dual_mov_b32 v6, s3
	flat_load_b128 v[5:8], v[5:6]
	s_wait_loadcnt_dscnt 0x101
	v_cmp_eq_f64_e32 vcc_lo, 0, v[1:2]
	v_cmp_eq_f64_e64 s2, 0, v[3:4]
	s_and_b32 s4, vcc_lo, s2
	s_mov_b32 s2, -1
	s_and_saveexec_b32 s3, s4
	s_cbranch_execz .LBB35_2
; %bb.1:
	s_wait_loadcnt_dscnt 0x0
	v_cmp_neq_f64_e32 vcc_lo, 1.0, v[5:6]
	v_cmp_neq_f64_e64 s2, 0, v[7:8]
	s_wait_alu 0xfffe
	s_or_b32 s2, vcc_lo, s2
	s_wait_alu 0xfffe
	s_or_not1_b32 s2, s2, exec_lo
.LBB35_2:
	s_wait_alu 0xfffe
	s_or_b32 exec_lo, exec_lo, s3
	s_and_saveexec_b32 s3, s2
	s_cbranch_execz .LBB35_24
; %bb.3:
	s_load_b64 s[2:3], s[0:1], 0x20
	s_mov_b32 s21, 0
	s_mov_b32 s20, ttmp9
	s_mov_b32 s13, s21
	s_wait_kmcnt 0x0
	s_cmp_eq_u64 s[2:3], 0
	s_cbranch_scc1 .LBB35_5
; %bb.4:
	s_lshl_b64 s[4:5], s[20:21], 3
	s_delay_alu instid0(SALU_CYCLE_1)
	s_add_nc_u64 s[2:3], s[2:3], s[4:5]
	s_load_b64 s[2:3], s[2:3], 0x0
	s_wait_kmcnt 0x0
	s_sub_nc_u64 s[20:21], s[2:3], s[12:13]
.LBB35_5:
	s_load_b64 s[14:15], s[0:1], 0x48
	v_lshrrev_b32_e32 v13, 5, v0
	v_mov_b32_e32 v14, 0
	s_wait_kmcnt 0x0
	s_delay_alu instid0(VALU_DEP_1)
	v_cmp_gt_i64_e32 vcc_lo, s[14:15], v[13:14]
	s_and_b32 exec_lo, exec_lo, vcc_lo
	s_cbranch_execz .LBB35_24
; %bb.6:
	s_clause 0x2
	s_load_b256 s[4:11], s[0:1], 0x28
	s_load_b64 s[16:17], s[0:1], 0x50
	s_load_b64 s[18:19], s[0:1], 0x68
	v_dual_mov_b32 v16, v14 :: v_dual_and_b32 v15, 31, v0
	v_mbcnt_lo_u32_b32 v0, -1, 0
	s_lshl_b64 s[22:23], s[20:21], 3
	s_wait_loadcnt_dscnt 0x0
	v_cmp_eq_f64_e32 vcc_lo, 0, v[5:6]
	v_cmp_eq_f64_e64 s2, 0, v[7:8]
	s_load_b32 s26, s[0:1], 0x0
	v_xor_b32_e32 v9, 16, v0
	v_xor_b32_e32 v10, 8, v0
	;; [unrolled: 1-line block ×5, first 2 shown]
	v_cmp_gt_i32_e64 s3, 32, v9
	v_lshlrev_b32_e32 v19, 4, v15
	s_mul_u64 s[20:21], s[20:21], s[14:15]
	v_cmp_gt_u64_e64 s0, s[14:15], v[15:16]
	v_cmp_eq_u32_e64 s1, 31, v15
	s_wait_kmcnt 0x0
	s_add_nc_u64 s[4:5], s[4:5], s[22:23]
	v_cndmask_b32_e64 v9, v0, v9, s3
	s_load_b64 s[24:25], s[4:5], 0x0
	v_cmp_gt_i32_e64 s3, 32, v10
	s_add_nc_u64 s[22:23], s[6:7], s[22:23]
	s_cmp_eq_u64 s[6:7], 0
	s_add_nc_u64 s[4:5], s[4:5], 8
	s_mov_b32 s28, 0
	s_wait_alu 0xf1ff
	v_cndmask_b32_e64 v10, v0, v10, s3
	v_cmp_gt_i32_e64 s3, 32, v11
	s_cselect_b32 s5, s5, s23
	s_cselect_b32 s4, s4, s22
	s_cmp_lg_u32 s26, 0
	s_load_b64 s[22:23], s[4:5], 0x0
	v_cndmask_b32_e64 v11, v0, v11, s3
	v_cmp_gt_i32_e64 s3, 32, v12
	v_lshlrev_b32_e32 v29, 2, v10
	s_delay_alu instid0(VALU_DEP_3) | instskip(SKIP_1) | instid1(VALU_DEP_3)
	v_lshlrev_b32_e32 v30, 2, v11
	s_wait_alu 0xf1ff
	v_cndmask_b32_e64 v12, v0, v12, s3
	v_cmp_gt_i32_e64 s3, 32, v17
	s_wait_kmcnt 0x0
	s_sub_nc_u64 s[4:5], s[24:25], s[12:13]
	s_delay_alu instid0(SALU_CYCLE_1)
	s_mul_i32 s6, s15, s4
	s_mul_i32 s7, s14, s5
	v_cndmask_b32_e64 v17, v0, v17, s3
	v_lshlrev_b32_e32 v0, 2, v9
	v_mad_co_u64_u32 v[9:10], null, s14, s4, v[13:14]
	s_cselect_b32 s3, -1, 0
	v_lshlrev_b32_e32 v32, 2, v17
	s_and_b32 s29, vcc_lo, s2
	v_lshlrev_b32_e32 v31, 2, v12
	v_cmp_lt_i64_e64 s30, s[24:25], s[22:23]
	s_lshl_b64 s[20:21], s[20:21], 4
	v_add3_u32 v10, s7, s6, v10
	v_mul_lo_u32 v11, s15, v9
	v_mad_co_u64_u32 v[17:18], null, s14, v9, 0
	s_sub_nc_u64 s[6:7], s[22:23], s[12:13]
	v_mul_lo_u32 v9, s14, v10
	v_add_co_u32 v10, s2, s16, v19
	s_wait_alu 0xf1ff
	v_add_co_ci_u32_e64 v12, null, s17, 0, s2
	s_add_nc_u64 s[16:17], s[18:19], s[20:21]
	v_add_co_u32 v19, vcc_lo, v10, 8
	s_delay_alu instid0(VALU_DEP_1)
	v_add_co_ci_u32_e64 v20, null, 0, v12, vcc_lo
	v_add3_u32 v18, v18, v9, v11
	s_lshl_b64 s[18:19], s[14:15], 4
	s_lshl_b64 s[20:21], s[14:15], 5
	s_mul_u64 s[22:23], s[14:15], s[14:15]
	s_branch .LBB35_8
.LBB35_7:                               ;   in Loop: Header=BB35_8 Depth=1
	s_wait_alu 0xfffe
	s_or_b32 exec_lo, exec_lo, s2
	v_add_co_u32 v13, vcc_lo, v13, 32
	s_wait_alu 0xfffd
	v_add_co_ci_u32_e64 v14, null, 0, v14, vcc_lo
	v_add_co_u32 v17, s2, v17, s20
	s_wait_alu 0xf1ff
	v_add_co_ci_u32_e64 v18, null, s21, v18, s2
	s_delay_alu instid0(VALU_DEP_3) | instskip(SKIP_1) | instid1(SALU_CYCLE_1)
	v_cmp_le_i64_e32 vcc_lo, s[14:15], v[13:14]
	s_or_b32 s28, vcc_lo, s28
	s_and_not1_b32 exec_lo, exec_lo, s28
	s_cbranch_execz .LBB35_24
.LBB35_8:                               ; =>This Loop Header: Depth=1
                                        ;     Child Loop BB35_12 Depth 2
                                        ;       Child Loop BB35_15 Depth 3
	v_mov_b32_e32 v9, 0
	v_dual_mov_b32 v10, 0 :: v_dual_mov_b32 v11, 0
	v_mov_b32_e32 v12, 0
	s_and_not1_b32 vcc_lo, exec_lo, s30
	s_wait_alu 0xfffe
	s_cbranch_vccnz .LBB35_19
; %bb.9:                                ;   in Loop: Header=BB35_8 Depth=1
	v_mov_b32_e32 v9, 0
	v_dual_mov_b32 v10, 0 :: v_dual_mov_b32 v11, 0
	v_mov_b32_e32 v12, 0
	s_wait_dscnt 0x2
	v_dual_mov_b32 v22, v18 :: v_dual_mov_b32 v21, v17
	s_mov_b64 s[24:25], s[4:5]
	s_branch .LBB35_12
.LBB35_10:                              ;   in Loop: Header=BB35_12 Depth=2
	s_or_b32 exec_lo, exec_lo, s33
.LBB35_11:                              ;   in Loop: Header=BB35_12 Depth=2
	s_delay_alu instid0(SALU_CYCLE_1)
	s_or_b32 exec_lo, exec_lo, s31
	s_wait_alu 0xfffe
	s_add_nc_u64 s[24:25], s[24:25], 1
	v_add_co_u32 v21, vcc_lo, v21, s22
	s_wait_alu 0xfffe
	v_cmp_ge_i64_e64 s2, s[24:25], s[6:7]
	s_wait_alu 0xfffd
	v_add_co_ci_u32_e64 v22, null, s23, v22, vcc_lo
	s_and_b32 vcc_lo, exec_lo, s2
	s_wait_alu 0xfffe
	s_cbranch_vccnz .LBB35_19
.LBB35_12:                              ;   Parent Loop BB35_8 Depth=1
                                        ; =>  This Loop Header: Depth=2
                                        ;       Child Loop BB35_15 Depth 3
	s_and_saveexec_b32 s31, s0
	s_cbranch_execz .LBB35_11
; %bb.13:                               ;   in Loop: Header=BB35_12 Depth=2
	s_wait_alu 0xfffe
	s_lshl_b64 s[26:27], s[24:25], 3
	v_dual_mov_b32 v26, v16 :: v_dual_mov_b32 v25, v15
	s_wait_alu 0xfffe
	s_add_nc_u64 s[26:27], s[8:9], s[26:27]
	s_mov_b32 s33, 0
	s_load_b64 s[26:27], s[26:27], 0x0
	s_wait_kmcnt 0x0
	s_sub_nc_u64 s[26:27], s[26:27], s[12:13]
	s_wait_dscnt 0x0
	s_wait_alu 0xfffe
	v_mad_co_u64_u32 v[23:24], null, s18, s26, v[19:20]
	s_mul_i32 s2, s19, s26
	s_mul_i32 s26, s18, s27
	s_wait_alu 0xfffe
	v_add3_u32 v24, s26, s2, v24
	s_mul_u64 s[26:27], s[24:25], s[14:15]
	s_branch .LBB35_15
.LBB35_14:                              ;   in Loop: Header=BB35_15 Depth=3
	s_delay_alu instid0(VALU_DEP_1) | instskip(NEXT) | instid1(VALU_DEP_1)
	v_lshlrev_b64_e32 v[27:28], 4, v[27:28]
	v_add_co_u32 v27, vcc_lo, s10, v27
	s_wait_alu 0xfffd
	s_delay_alu instid0(VALU_DEP_2)
	v_add_co_ci_u32_e64 v28, null, s11, v28, vcc_lo
	v_add_co_u32 v25, vcc_lo, v25, 32
	global_load_b128 v[33:36], v[23:24], off offset:-8
	global_load_b128 v[37:40], v[27:28], off
	s_wait_alu 0xfffd
	v_add_co_ci_u32_e64 v26, null, 0, v26, vcc_lo
	v_add_co_u32 v23, s2, 0x200, v23
	s_wait_alu 0xf1ff
	v_add_co_ci_u32_e64 v24, null, 0, v24, s2
	s_delay_alu instid0(VALU_DEP_3) | instskip(SKIP_4) | instid1(VALU_DEP_2)
	v_cmp_le_i64_e32 vcc_lo, s[14:15], v[25:26]
	s_or_b32 s33, vcc_lo, s33
	s_wait_loadcnt 0x0
	v_fma_f64 v[11:12], v[37:38], v[33:34], v[11:12]
	v_fma_f64 v[9:10], v[39:40], v[33:34], v[9:10]
	v_fma_f64 v[11:12], -v[39:40], v[35:36], v[11:12]
	s_delay_alu instid0(VALU_DEP_2)
	v_fma_f64 v[9:10], v[37:38], v[35:36], v[9:10]
	s_and_not1_b32 exec_lo, exec_lo, s33
	s_cbranch_execz .LBB35_10
.LBB35_15:                              ;   Parent Loop BB35_8 Depth=1
                                        ;     Parent Loop BB35_12 Depth=2
                                        ; =>    This Inner Loop Header: Depth=3
	s_and_b32 vcc_lo, exec_lo, s3
	s_wait_alu 0xfffe
	s_cbranch_vccz .LBB35_17
; %bb.16:                               ;   in Loop: Header=BB35_15 Depth=3
	v_add_co_u32 v27, vcc_lo, v25, s26
	s_wait_alu 0xfffd
	v_add_co_ci_u32_e64 v28, null, s27, v26, vcc_lo
	s_delay_alu instid0(VALU_DEP_2) | instskip(NEXT) | instid1(VALU_DEP_2)
	v_mul_lo_u32 v33, v27, s15
	v_mul_lo_u32 v34, v28, s14
	v_mad_co_u64_u32 v[27:28], null, v27, s14, v[13:14]
	s_delay_alu instid0(VALU_DEP_1)
	v_add3_u32 v28, v34, v28, v33
	s_cbranch_execnz .LBB35_14
	s_branch .LBB35_18
.LBB35_17:                              ;   in Loop: Header=BB35_15 Depth=3
                                        ; implicit-def: $vgpr27_vgpr28
.LBB35_18:                              ;   in Loop: Header=BB35_15 Depth=3
	v_add_co_u32 v27, vcc_lo, v21, v25
	s_wait_alu 0xfffd
	v_add_co_ci_u32_e64 v28, null, v22, v26, vcc_lo
	s_branch .LBB35_14
.LBB35_19:                              ;   in Loop: Header=BB35_8 Depth=1
	s_wait_dscnt 0x3
	ds_bpermute_b32 v21, v0, v11
	s_wait_dscnt 0x3
	ds_bpermute_b32 v22, v0, v12
	;; [unrolled: 2-line block ×4, first 2 shown]
	s_wait_dscnt 0x2
	v_add_f64_e32 v[11:12], v[11:12], v[21:22]
	s_wait_dscnt 0x0
	v_add_f64_e32 v[9:10], v[9:10], v[23:24]
	ds_bpermute_b32 v21, v29, v11
	ds_bpermute_b32 v22, v29, v12
	ds_bpermute_b32 v23, v29, v9
	ds_bpermute_b32 v24, v29, v10
	s_wait_dscnt 0x2
	v_add_f64_e32 v[11:12], v[11:12], v[21:22]
	s_wait_dscnt 0x0
	v_add_f64_e32 v[9:10], v[9:10], v[23:24]
	ds_bpermute_b32 v21, v30, v11
	ds_bpermute_b32 v22, v30, v12
	ds_bpermute_b32 v23, v30, v9
	ds_bpermute_b32 v24, v30, v10
	;; [unrolled: 8-line block ×4, first 2 shown]
	s_and_saveexec_b32 s2, s1
	s_cbranch_execz .LBB35_7
; %bb.20:                               ;   in Loop: Header=BB35_8 Depth=1
	s_wait_dscnt 0x0
	v_add_f64_e32 v[11:12], v[11:12], v[23:24]
	v_add_f64_e32 v[21:22], v[9:10], v[21:22]
	s_delay_alu instid0(VALU_DEP_2) | instskip(SKIP_1) | instid1(VALU_DEP_2)
	v_mul_f64_e64 v[9:10], v[11:12], -v[3:4]
	v_mul_f64_e32 v[11:12], v[1:2], v[11:12]
	v_fma_f64 v[9:10], v[1:2], v[21:22], v[9:10]
	s_delay_alu instid0(VALU_DEP_2)
	v_fma_f64 v[11:12], v[3:4], v[21:22], v[11:12]
	v_lshlrev_b64_e32 v[21:22], 4, v[13:14]
	s_and_saveexec_b32 s24, s29
	s_wait_alu 0xfffe
	s_xor_b32 s24, exec_lo, s24
	s_cbranch_execz .LBB35_22
; %bb.21:                               ;   in Loop: Header=BB35_8 Depth=1
	s_delay_alu instid0(VALU_DEP_1)
	v_add_co_u32 v21, vcc_lo, s16, v21
	s_wait_alu 0xfffd
	v_add_co_ci_u32_e64 v22, null, s17, v22, vcc_lo
	global_store_b128 v[21:22], v[9:12], off
                                        ; implicit-def: $vgpr21_vgpr22
                                        ; implicit-def: $vgpr9_vgpr10
.LBB35_22:                              ;   in Loop: Header=BB35_8 Depth=1
	s_wait_alu 0xfffe
	s_and_not1_saveexec_b32 s24, s24
	s_cbranch_execz .LBB35_7
; %bb.23:                               ;   in Loop: Header=BB35_8 Depth=1
	v_add_co_u32 v25, vcc_lo, s16, v21
	s_wait_alu 0xfffd
	v_add_co_ci_u32_e64 v26, null, s17, v22, vcc_lo
	global_load_b128 v[21:24], v[25:26], off
	s_wait_loadcnt 0x0
	v_fma_f64 v[9:10], v[5:6], v[21:22], v[9:10]
	v_fma_f64 v[11:12], v[7:8], v[21:22], v[11:12]
	s_delay_alu instid0(VALU_DEP_2) | instskip(NEXT) | instid1(VALU_DEP_2)
	v_fma_f64 v[9:10], -v[7:8], v[23:24], v[9:10]
	v_fma_f64 v[11:12], v[5:6], v[23:24], v[11:12]
	global_store_b128 v[25:26], v[9:12], off
	s_branch .LBB35_7
.LBB35_24:
	s_endpgm
	.section	.rodata,"a",@progbits
	.p2align	6, 0x0
	.amdhsa_kernel _ZN9rocsparseL22bsrxmvn_general_kernelILj1024ELj32E21rocsparse_complex_numIdEllS2_S2_S2_EEv20rocsparse_direction_NS_24const_host_device_scalarIT1_EET3_PKS7_PKT2_SC_S9_PKT4_S7_PKT5_S6_PT6_21rocsparse_index_base_b
		.amdhsa_group_segment_fixed_size 0
		.amdhsa_private_segment_fixed_size 0
		.amdhsa_kernarg_size 120
		.amdhsa_user_sgpr_count 2
		.amdhsa_user_sgpr_dispatch_ptr 0
		.amdhsa_user_sgpr_queue_ptr 0
		.amdhsa_user_sgpr_kernarg_segment_ptr 1
		.amdhsa_user_sgpr_dispatch_id 0
		.amdhsa_user_sgpr_private_segment_size 0
		.amdhsa_wavefront_size32 1
		.amdhsa_uses_dynamic_stack 0
		.amdhsa_enable_private_segment 0
		.amdhsa_system_sgpr_workgroup_id_x 1
		.amdhsa_system_sgpr_workgroup_id_y 0
		.amdhsa_system_sgpr_workgroup_id_z 0
		.amdhsa_system_sgpr_workgroup_info 0
		.amdhsa_system_vgpr_workitem_id 0
		.amdhsa_next_free_vgpr 41
		.amdhsa_next_free_sgpr 34
		.amdhsa_reserve_vcc 1
		.amdhsa_float_round_mode_32 0
		.amdhsa_float_round_mode_16_64 0
		.amdhsa_float_denorm_mode_32 3
		.amdhsa_float_denorm_mode_16_64 3
		.amdhsa_fp16_overflow 0
		.amdhsa_workgroup_processor_mode 1
		.amdhsa_memory_ordered 1
		.amdhsa_forward_progress 1
		.amdhsa_inst_pref_size 14
		.amdhsa_round_robin_scheduling 0
		.amdhsa_exception_fp_ieee_invalid_op 0
		.amdhsa_exception_fp_denorm_src 0
		.amdhsa_exception_fp_ieee_div_zero 0
		.amdhsa_exception_fp_ieee_overflow 0
		.amdhsa_exception_fp_ieee_underflow 0
		.amdhsa_exception_fp_ieee_inexact 0
		.amdhsa_exception_int_div_zero 0
	.end_amdhsa_kernel
	.section	.text._ZN9rocsparseL22bsrxmvn_general_kernelILj1024ELj32E21rocsparse_complex_numIdEllS2_S2_S2_EEv20rocsparse_direction_NS_24const_host_device_scalarIT1_EET3_PKS7_PKT2_SC_S9_PKT4_S7_PKT5_S6_PT6_21rocsparse_index_base_b,"axG",@progbits,_ZN9rocsparseL22bsrxmvn_general_kernelILj1024ELj32E21rocsparse_complex_numIdEllS2_S2_S2_EEv20rocsparse_direction_NS_24const_host_device_scalarIT1_EET3_PKS7_PKT2_SC_S9_PKT4_S7_PKT5_S6_PT6_21rocsparse_index_base_b,comdat
.Lfunc_end35:
	.size	_ZN9rocsparseL22bsrxmvn_general_kernelILj1024ELj32E21rocsparse_complex_numIdEllS2_S2_S2_EEv20rocsparse_direction_NS_24const_host_device_scalarIT1_EET3_PKS7_PKT2_SC_S9_PKT4_S7_PKT5_S6_PT6_21rocsparse_index_base_b, .Lfunc_end35-_ZN9rocsparseL22bsrxmvn_general_kernelILj1024ELj32E21rocsparse_complex_numIdEllS2_S2_S2_EEv20rocsparse_direction_NS_24const_host_device_scalarIT1_EET3_PKS7_PKT2_SC_S9_PKT4_S7_PKT5_S6_PT6_21rocsparse_index_base_b
                                        ; -- End function
	.set _ZN9rocsparseL22bsrxmvn_general_kernelILj1024ELj32E21rocsparse_complex_numIdEllS2_S2_S2_EEv20rocsparse_direction_NS_24const_host_device_scalarIT1_EET3_PKS7_PKT2_SC_S9_PKT4_S7_PKT5_S6_PT6_21rocsparse_index_base_b.num_vgpr, 41
	.set _ZN9rocsparseL22bsrxmvn_general_kernelILj1024ELj32E21rocsparse_complex_numIdEllS2_S2_S2_EEv20rocsparse_direction_NS_24const_host_device_scalarIT1_EET3_PKS7_PKT2_SC_S9_PKT4_S7_PKT5_S6_PT6_21rocsparse_index_base_b.num_agpr, 0
	.set _ZN9rocsparseL22bsrxmvn_general_kernelILj1024ELj32E21rocsparse_complex_numIdEllS2_S2_S2_EEv20rocsparse_direction_NS_24const_host_device_scalarIT1_EET3_PKS7_PKT2_SC_S9_PKT4_S7_PKT5_S6_PT6_21rocsparse_index_base_b.numbered_sgpr, 34
	.set _ZN9rocsparseL22bsrxmvn_general_kernelILj1024ELj32E21rocsparse_complex_numIdEllS2_S2_S2_EEv20rocsparse_direction_NS_24const_host_device_scalarIT1_EET3_PKS7_PKT2_SC_S9_PKT4_S7_PKT5_S6_PT6_21rocsparse_index_base_b.num_named_barrier, 0
	.set _ZN9rocsparseL22bsrxmvn_general_kernelILj1024ELj32E21rocsparse_complex_numIdEllS2_S2_S2_EEv20rocsparse_direction_NS_24const_host_device_scalarIT1_EET3_PKS7_PKT2_SC_S9_PKT4_S7_PKT5_S6_PT6_21rocsparse_index_base_b.private_seg_size, 0
	.set _ZN9rocsparseL22bsrxmvn_general_kernelILj1024ELj32E21rocsparse_complex_numIdEllS2_S2_S2_EEv20rocsparse_direction_NS_24const_host_device_scalarIT1_EET3_PKS7_PKT2_SC_S9_PKT4_S7_PKT5_S6_PT6_21rocsparse_index_base_b.uses_vcc, 1
	.set _ZN9rocsparseL22bsrxmvn_general_kernelILj1024ELj32E21rocsparse_complex_numIdEllS2_S2_S2_EEv20rocsparse_direction_NS_24const_host_device_scalarIT1_EET3_PKS7_PKT2_SC_S9_PKT4_S7_PKT5_S6_PT6_21rocsparse_index_base_b.uses_flat_scratch, 0
	.set _ZN9rocsparseL22bsrxmvn_general_kernelILj1024ELj32E21rocsparse_complex_numIdEllS2_S2_S2_EEv20rocsparse_direction_NS_24const_host_device_scalarIT1_EET3_PKS7_PKT2_SC_S9_PKT4_S7_PKT5_S6_PT6_21rocsparse_index_base_b.has_dyn_sized_stack, 0
	.set _ZN9rocsparseL22bsrxmvn_general_kernelILj1024ELj32E21rocsparse_complex_numIdEllS2_S2_S2_EEv20rocsparse_direction_NS_24const_host_device_scalarIT1_EET3_PKS7_PKT2_SC_S9_PKT4_S7_PKT5_S6_PT6_21rocsparse_index_base_b.has_recursion, 0
	.set _ZN9rocsparseL22bsrxmvn_general_kernelILj1024ELj32E21rocsparse_complex_numIdEllS2_S2_S2_EEv20rocsparse_direction_NS_24const_host_device_scalarIT1_EET3_PKS7_PKT2_SC_S9_PKT4_S7_PKT5_S6_PT6_21rocsparse_index_base_b.has_indirect_call, 0
	.section	.AMDGPU.csdata,"",@progbits
; Kernel info:
; codeLenInByte = 1736
; TotalNumSgprs: 36
; NumVgprs: 41
; ScratchSize: 0
; MemoryBound: 0
; FloatMode: 240
; IeeeMode: 1
; LDSByteSize: 0 bytes/workgroup (compile time only)
; SGPRBlocks: 0
; VGPRBlocks: 5
; NumSGPRsForWavesPerEU: 36
; NumVGPRsForWavesPerEU: 41
; Occupancy: 16
; WaveLimiterHint : 0
; COMPUTE_PGM_RSRC2:SCRATCH_EN: 0
; COMPUTE_PGM_RSRC2:USER_SGPR: 2
; COMPUTE_PGM_RSRC2:TRAP_HANDLER: 0
; COMPUTE_PGM_RSRC2:TGID_X_EN: 1
; COMPUTE_PGM_RSRC2:TGID_Y_EN: 0
; COMPUTE_PGM_RSRC2:TGID_Z_EN: 0
; COMPUTE_PGM_RSRC2:TIDIG_COMP_CNT: 0
	.section	.text._ZN9rocsparseL22bsrxmvn_general_kernelILj64ELj8EiiiaaiEEv20rocsparse_direction_NS_24const_host_device_scalarIT1_EET3_PKS5_PKT2_SA_S7_PKT4_S5_PKT5_S4_PT6_21rocsparse_index_base_b,"axG",@progbits,_ZN9rocsparseL22bsrxmvn_general_kernelILj64ELj8EiiiaaiEEv20rocsparse_direction_NS_24const_host_device_scalarIT1_EET3_PKS5_PKT2_SA_S7_PKT4_S5_PKT5_S4_PT6_21rocsparse_index_base_b,comdat
	.globl	_ZN9rocsparseL22bsrxmvn_general_kernelILj64ELj8EiiiaaiEEv20rocsparse_direction_NS_24const_host_device_scalarIT1_EET3_PKS5_PKT2_SA_S7_PKT4_S5_PKT5_S4_PT6_21rocsparse_index_base_b ; -- Begin function _ZN9rocsparseL22bsrxmvn_general_kernelILj64ELj8EiiiaaiEEv20rocsparse_direction_NS_24const_host_device_scalarIT1_EET3_PKS5_PKT2_SA_S7_PKT4_S5_PKT5_S4_PT6_21rocsparse_index_base_b
	.p2align	8
	.type	_ZN9rocsparseL22bsrxmvn_general_kernelILj64ELj8EiiiaaiEEv20rocsparse_direction_NS_24const_host_device_scalarIT1_EET3_PKS5_PKT2_SA_S7_PKT4_S5_PKT5_S4_PT6_21rocsparse_index_base_b,@function
_ZN9rocsparseL22bsrxmvn_general_kernelILj64ELj8EiiiaaiEEv20rocsparse_direction_NS_24const_host_device_scalarIT1_EET3_PKS5_PKT2_SA_S7_PKT4_S5_PKT5_S4_PT6_21rocsparse_index_base_b: ; @_ZN9rocsparseL22bsrxmvn_general_kernelILj64ELj8EiiiaaiEEv20rocsparse_direction_NS_24const_host_device_scalarIT1_EET3_PKS5_PKT2_SA_S7_PKT4_S5_PKT5_S4_PT6_21rocsparse_index_base_b
; %bb.0:
	s_clause 0x1
	s_load_b64 s[2:3], s[0:1], 0x60
	s_load_b64 s[6:7], s[0:1], 0x8
	s_mov_b32 s9, -1
	s_wait_kmcnt 0x0
	s_bitcmp1_b32 s3, 0
	s_cselect_b32 s3, -1, 0
	s_delay_alu instid0(SALU_CYCLE_1) | instskip(NEXT) | instid1(SALU_CYCLE_1)
	s_xor_b32 s8, s3, -1
                                        ; implicit-def: $sgpr3
	s_and_b32 vcc_lo, exec_lo, s8
	s_cbranch_vccnz .LBB36_4
; %bb.1:
	s_load_b64 s[4:5], s[0:1], 0x50
	s_and_not1_b32 vcc_lo, exec_lo, s9
	s_cbranch_vccz .LBB36_5
.LBB36_2:
	s_and_b32 vcc_lo, exec_lo, s8
	s_cbranch_vccz .LBB36_6
.LBB36_3:
	s_wait_kmcnt 0x0
	s_load_b32 s22, s[4:5], 0x0
	s_cbranch_execz .LBB36_7
	s_branch .LBB36_8
.LBB36_4:
	s_load_b32 s3, s[6:7], 0x0
	s_load_b64 s[4:5], s[0:1], 0x50
	s_cbranch_execnz .LBB36_2
.LBB36_5:
	s_wait_kmcnt 0x0
	s_mov_b32 s3, s6
	s_and_b32 vcc_lo, exec_lo, s8
	s_cbranch_vccnz .LBB36_3
.LBB36_6:
	s_wait_kmcnt 0x0
                                        ; implicit-def: $sgpr22
.LBB36_7:
	s_wait_kmcnt 0x0
	s_mov_b32 s22, s4
.LBB36_8:
	s_cmp_lg_u32 s3, 0
	s_cselect_b32 s4, -1, 0
	s_wait_kmcnt 0x0
	s_cmp_lg_u32 s22, 1
	s_cselect_b32 s5, -1, 0
	s_delay_alu instid0(SALU_CYCLE_1) | instskip(NEXT) | instid1(SALU_CYCLE_1)
	s_or_b32 s4, s4, s5
	s_and_not1_b32 vcc_lo, exec_lo, s4
	s_cbranch_vccnz .LBB36_31
; %bb.9:
	s_load_b64 s[4:5], s[0:1], 0x18
	s_wait_kmcnt 0x0
	s_cmp_eq_u64 s[4:5], 0
	s_cbranch_scc1 .LBB36_11
; %bb.10:
	s_mov_b32 s6, ttmp9
	s_ashr_i32 s7, ttmp9, 31
	s_delay_alu instid0(SALU_CYCLE_1) | instskip(NEXT) | instid1(SALU_CYCLE_1)
	s_lshl_b64 s[6:7], s[6:7], 2
	s_add_nc_u64 s[4:5], s[4:5], s[6:7]
	s_load_b32 s4, s[4:5], 0x0
	s_wait_kmcnt 0x0
	s_sub_co_i32 s18, s4, s2
	s_branch .LBB36_12
.LBB36_11:
	s_mov_b32 s18, ttmp9
.LBB36_12:
	s_load_b32 s12, s[0:1], 0x40
	v_lshrrev_b32_e32 v1, 3, v0
	s_mov_b32 s4, exec_lo
	s_wait_kmcnt 0x0
	s_delay_alu instid0(VALU_DEP_1)
	v_cmpx_gt_i32_e64 s12, v1
	s_cbranch_execz .LBB36_31
; %bb.13:
	s_load_b256 s[4:11], s[0:1], 0x20
	s_ashr_i32 s19, s18, 31
	v_dual_mov_b32 v4, 0 :: v_dual_and_b32 v3, 7, v0
	s_lshl_b64 s[14:15], s[18:19], 2
	v_mbcnt_lo_u32_b32 v0, -1, 0
	v_mul_lo_u32 v11, s12, v1
	s_delay_alu instid0(VALU_DEP_3)
	v_mul_lo_u32 v12, s12, v3
	s_mov_b32 s13, 0
	s_mul_i32 s27, s18, s12
	v_xor_b32_e32 v2, 4, v0
	v_xor_b32_e32 v5, 2, v0
	;; [unrolled: 1-line block ×3, first 2 shown]
	s_delay_alu instid0(VALU_DEP_3)
	v_cmp_gt_i32_e32 vcc_lo, 32, v2
	v_cndmask_b32_e32 v2, v0, v2, vcc_lo
	s_wait_kmcnt 0x0
	s_add_nc_u64 s[4:5], s[4:5], s[14:15]
	s_add_nc_u64 s[16:17], s[6:7], s[14:15]
	s_load_b32 s19, s[4:5], 0x0
	s_add_nc_u64 s[20:21], s[4:5], 4
	v_cmp_gt_i32_e32 vcc_lo, 32, v5
	s_wait_alu 0xfffd
	v_cndmask_b32_e32 v5, v0, v5, vcc_lo
	v_cmp_gt_i32_e32 vcc_lo, 32, v6
	s_delay_alu instid0(VALU_DEP_2) | instskip(SKIP_2) | instid1(VALU_DEP_1)
	v_lshlrev_b32_e32 v14, 2, v5
	s_wait_alu 0xfffd
	v_cndmask_b32_e32 v0, v0, v6, vcc_lo
	v_lshlrev_b32_e32 v15, 2, v0
	v_lshlrev_b32_e32 v13, 2, v2
	s_wait_kmcnt 0x0
	s_sub_co_i32 s4, s19, s2
	s_cmp_eq_u64 s[6:7], 0
	s_clause 0x1
	s_load_b64 s[6:7], s[0:1], 0x58
	s_load_b64 s[14:15], s[0:1], 0x48
	s_cselect_b32 s17, s21, s17
	s_cselect_b32 s16, s20, s16
	s_load_b32 s5, s[16:17], 0x0
	s_load_b32 s20, s[0:1], 0x0
	v_cmp_gt_u32_e64 s0, s12, v3
	v_cmp_eq_u32_e64 s1, 7, v3
	s_mul_u64 s[16:17], s[12:13], s[12:13]
	s_wait_kmcnt 0x0
	s_sub_co_i32 s23, s5, s2
	s_cmp_lt_i32 s19, s5
	s_cselect_b32 s24, -1, 0
	s_cmp_lg_u32 s20, 0
	s_cselect_b32 s25, -1, 0
	s_cmp_lg_u32 s22, 0
	s_cselect_b32 s26, -1, 0
	s_ashr_i32 s5, s4, 31
	s_delay_alu instid0(SALU_CYCLE_1)
	s_mul_u64 s[18:19], s[4:5], s[16:17]
	s_lshl_b32 s5, s12, 3
	s_branch .LBB36_15
.LBB36_14:                              ;   in Loop: Header=BB36_15 Depth=1
	s_wait_alu 0xfffe
	s_or_b32 exec_lo, exec_lo, s20
	v_add_nc_u32_e32 v1, 8, v1
	v_add_nc_u32_e32 v11, s5, v11
	s_delay_alu instid0(VALU_DEP_2)
	v_cmp_le_i32_e32 vcc_lo, s12, v1
	s_or_b32 s13, vcc_lo, s13
	s_wait_alu 0xfffe
	s_and_not1_b32 exec_lo, exec_lo, s13
	s_cbranch_execz .LBB36_31
.LBB36_15:                              ; =>This Loop Header: Depth=1
                                        ;     Child Loop BB36_19 Depth 2
                                        ;       Child Loop BB36_22 Depth 3
	v_mov_b32_e32 v0, 0
	s_and_not1_b32 vcc_lo, exec_lo, s24
	s_wait_alu 0xfffe
	s_cbranch_vccnz .LBB36_26
; %bb.16:                               ;   in Loop: Header=BB36_15 Depth=1
	v_ashrrev_i32_e32 v0, 31, v11
	v_add_co_u32 v16, vcc_lo, s18, v11
	s_wait_dscnt 0x0
	v_ashrrev_i32_e32 v2, 31, v1
	s_mov_b32 s20, s4
	s_wait_alu 0xfffd
	v_add_co_ci_u32_e64 v17, null, s19, v0, vcc_lo
	v_mov_b32_e32 v0, 0
	s_branch .LBB36_19
.LBB36_17:                              ;   in Loop: Header=BB36_19 Depth=2
	s_or_b32 exec_lo, exec_lo, s21
.LBB36_18:                              ;   in Loop: Header=BB36_19 Depth=2
	s_wait_alu 0xfffe
	s_or_b32 exec_lo, exec_lo, s28
	v_add_co_u32 v16, vcc_lo, v16, s16
	s_wait_alu 0xfffd
	v_add_co_ci_u32_e64 v17, null, s17, v17, vcc_lo
	s_add_co_i32 s20, s20, 1
	s_wait_alu 0xfffe
	s_cmp_ge_i32 s20, s23
	s_cbranch_scc1 .LBB36_26
.LBB36_19:                              ;   Parent Loop BB36_15 Depth=1
                                        ; =>  This Loop Header: Depth=2
                                        ;       Child Loop BB36_22 Depth 3
	s_and_saveexec_b32 s28, s0
	s_cbranch_execz .LBB36_18
; %bb.20:                               ;   in Loop: Header=BB36_19 Depth=2
	s_wait_alu 0xfffe
	s_ashr_i32 s21, s20, 31
	v_mad_co_u64_u32 v[5:6], null, s16, s20, v[1:2]
	s_wait_alu 0xfffe
	s_lshl_b64 s[30:31], s[20:21], 2
	s_mul_i32 s21, s16, s21
	s_wait_alu 0xfffe
	s_add_nc_u64 s[30:31], s[8:9], s[30:31]
	v_mov_b32_e32 v8, v4
	s_load_b32 s29, s[30:31], 0x0
	s_mul_i32 s30, s17, s20
	v_dual_mov_b32 v18, v12 :: v_dual_mov_b32 v7, v3
	s_wait_alu 0xfffe
	v_add3_u32 v6, s21, s30, v6
	s_wait_kmcnt 0x0
	s_sub_co_i32 s21, s29, s2
	s_wait_alu 0xfffe
	s_mul_i32 s29, s21, s12
	s_mov_b32 s21, 0
	s_branch .LBB36_22
.LBB36_21:                              ;   in Loop: Header=BB36_22 Depth=3
	v_add_nc_u32_e32 v19, s29, v7
	v_add_co_u32 v9, vcc_lo, s10, v9
	s_wait_alu 0xfffd
	v_add_co_ci_u32_e64 v10, null, s11, v10, vcc_lo
	s_delay_alu instid0(VALU_DEP_3) | instskip(SKIP_3) | instid1(VALU_DEP_3)
	v_ashrrev_i32_e32 v20, 31, v19
	v_add_co_u32 v19, vcc_lo, s14, v19
	v_add_nc_u32_e32 v18, s5, v18
	s_wait_alu 0xfffd
	v_add_co_ci_u32_e64 v20, null, s15, v20, vcc_lo
	v_add_co_u32 v7, vcc_lo, v7, 8
	global_load_i8 v9, v[9:10], off
	global_load_i8 v10, v[19:20], off
	s_wait_alu 0xfffd
	v_add_co_ci_u32_e64 v8, null, 0, v8, vcc_lo
	v_cmp_le_i32_e32 vcc_lo, s12, v7
	s_or_b32 s21, vcc_lo, s21
	s_wait_loadcnt 0x0
	v_mad_i32_i24 v0, v10, v9, v0
	s_wait_alu 0xfffe
	s_and_not1_b32 exec_lo, exec_lo, s21
	s_cbranch_execz .LBB36_17
.LBB36_22:                              ;   Parent Loop BB36_15 Depth=1
                                        ;     Parent Loop BB36_19 Depth=2
                                        ; =>    This Inner Loop Header: Depth=3
	s_and_b32 vcc_lo, exec_lo, s25
	s_wait_alu 0xfffe
	s_cbranch_vccz .LBB36_24
; %bb.23:                               ;   in Loop: Header=BB36_22 Depth=3
	v_ashrrev_i32_e32 v10, 31, v18
	v_add_co_u32 v9, vcc_lo, v5, v18
	s_wait_alu 0xfffd
	s_delay_alu instid0(VALU_DEP_2)
	v_add_co_ci_u32_e64 v10, null, v6, v10, vcc_lo
	s_cbranch_execnz .LBB36_21
	s_branch .LBB36_25
.LBB36_24:                              ;   in Loop: Header=BB36_22 Depth=3
                                        ; implicit-def: $vgpr9_vgpr10
.LBB36_25:                              ;   in Loop: Header=BB36_22 Depth=3
	v_add_co_u32 v9, vcc_lo, v16, v7
	s_wait_alu 0xfffd
	v_add_co_ci_u32_e64 v10, null, v17, v8, vcc_lo
	s_branch .LBB36_21
.LBB36_26:                              ;   in Loop: Header=BB36_15 Depth=1
	s_wait_dscnt 0x0
	ds_bpermute_b32 v2, v13, v0
	s_wait_dscnt 0x0
	v_add_nc_u32_e32 v0, v2, v0
	ds_bpermute_b32 v2, v14, v0
	s_wait_dscnt 0x0
	v_add_nc_u32_e32 v0, v2, v0
	ds_bpermute_b32 v2, v15, v0
	s_and_saveexec_b32 s20, s1
	s_cbranch_execz .LBB36_14
; %bb.27:                               ;   in Loop: Header=BB36_15 Depth=1
	s_wait_dscnt 0x0
	v_add_nc_u32_e32 v0, v2, v0
	v_add_nc_u32_e32 v5, s27, v1
	s_and_not1_b32 vcc_lo, exec_lo, s26
	s_delay_alu instid0(VALU_DEP_2) | instskip(NEXT) | instid1(VALU_DEP_2)
	v_mul_lo_u32 v0, v0, s3
	v_ashrrev_i32_e32 v6, 31, v5
	s_wait_alu 0xfffe
	s_cbranch_vccnz .LBB36_29
; %bb.28:                               ;   in Loop: Header=BB36_15 Depth=1
	s_delay_alu instid0(VALU_DEP_1) | instskip(NEXT) | instid1(VALU_DEP_1)
	v_lshlrev_b64_e32 v[7:8], 2, v[5:6]
	v_add_co_u32 v7, vcc_lo, s6, v7
	s_wait_alu 0xfffd
	s_delay_alu instid0(VALU_DEP_2)
	v_add_co_ci_u32_e64 v8, null, s7, v8, vcc_lo
	global_load_b32 v2, v[7:8], off
	s_wait_loadcnt 0x0
	v_mad_co_u64_u32 v[9:10], null, v2, s22, v[0:1]
	global_store_b32 v[7:8], v9, off
	s_cbranch_execnz .LBB36_14
	s_branch .LBB36_30
.LBB36_29:                              ;   in Loop: Header=BB36_15 Depth=1
.LBB36_30:                              ;   in Loop: Header=BB36_15 Depth=1
	s_delay_alu instid0(VALU_DEP_1) | instskip(NEXT) | instid1(VALU_DEP_1)
	v_lshlrev_b64_e32 v[5:6], 2, v[5:6]
	v_add_co_u32 v5, vcc_lo, s6, v5
	s_wait_alu 0xfffd
	s_delay_alu instid0(VALU_DEP_2)
	v_add_co_ci_u32_e64 v6, null, s7, v6, vcc_lo
	global_store_b32 v[5:6], v0, off
	s_branch .LBB36_14
.LBB36_31:
	s_endpgm
	.section	.rodata,"a",@progbits
	.p2align	6, 0x0
	.amdhsa_kernel _ZN9rocsparseL22bsrxmvn_general_kernelILj64ELj8EiiiaaiEEv20rocsparse_direction_NS_24const_host_device_scalarIT1_EET3_PKS5_PKT2_SA_S7_PKT4_S5_PKT5_S4_PT6_21rocsparse_index_base_b
		.amdhsa_group_segment_fixed_size 0
		.amdhsa_private_segment_fixed_size 0
		.amdhsa_kernarg_size 104
		.amdhsa_user_sgpr_count 2
		.amdhsa_user_sgpr_dispatch_ptr 0
		.amdhsa_user_sgpr_queue_ptr 0
		.amdhsa_user_sgpr_kernarg_segment_ptr 1
		.amdhsa_user_sgpr_dispatch_id 0
		.amdhsa_user_sgpr_private_segment_size 0
		.amdhsa_wavefront_size32 1
		.amdhsa_uses_dynamic_stack 0
		.amdhsa_enable_private_segment 0
		.amdhsa_system_sgpr_workgroup_id_x 1
		.amdhsa_system_sgpr_workgroup_id_y 0
		.amdhsa_system_sgpr_workgroup_id_z 0
		.amdhsa_system_sgpr_workgroup_info 0
		.amdhsa_system_vgpr_workitem_id 0
		.amdhsa_next_free_vgpr 21
		.amdhsa_next_free_sgpr 32
		.amdhsa_reserve_vcc 1
		.amdhsa_float_round_mode_32 0
		.amdhsa_float_round_mode_16_64 0
		.amdhsa_float_denorm_mode_32 3
		.amdhsa_float_denorm_mode_16_64 3
		.amdhsa_fp16_overflow 0
		.amdhsa_workgroup_processor_mode 1
		.amdhsa_memory_ordered 1
		.amdhsa_forward_progress 1
		.amdhsa_inst_pref_size 10
		.amdhsa_round_robin_scheduling 0
		.amdhsa_exception_fp_ieee_invalid_op 0
		.amdhsa_exception_fp_denorm_src 0
		.amdhsa_exception_fp_ieee_div_zero 0
		.amdhsa_exception_fp_ieee_overflow 0
		.amdhsa_exception_fp_ieee_underflow 0
		.amdhsa_exception_fp_ieee_inexact 0
		.amdhsa_exception_int_div_zero 0
	.end_amdhsa_kernel
	.section	.text._ZN9rocsparseL22bsrxmvn_general_kernelILj64ELj8EiiiaaiEEv20rocsparse_direction_NS_24const_host_device_scalarIT1_EET3_PKS5_PKT2_SA_S7_PKT4_S5_PKT5_S4_PT6_21rocsparse_index_base_b,"axG",@progbits,_ZN9rocsparseL22bsrxmvn_general_kernelILj64ELj8EiiiaaiEEv20rocsparse_direction_NS_24const_host_device_scalarIT1_EET3_PKS5_PKT2_SA_S7_PKT4_S5_PKT5_S4_PT6_21rocsparse_index_base_b,comdat
.Lfunc_end36:
	.size	_ZN9rocsparseL22bsrxmvn_general_kernelILj64ELj8EiiiaaiEEv20rocsparse_direction_NS_24const_host_device_scalarIT1_EET3_PKS5_PKT2_SA_S7_PKT4_S5_PKT5_S4_PT6_21rocsparse_index_base_b, .Lfunc_end36-_ZN9rocsparseL22bsrxmvn_general_kernelILj64ELj8EiiiaaiEEv20rocsparse_direction_NS_24const_host_device_scalarIT1_EET3_PKS5_PKT2_SA_S7_PKT4_S5_PKT5_S4_PT6_21rocsparse_index_base_b
                                        ; -- End function
	.set _ZN9rocsparseL22bsrxmvn_general_kernelILj64ELj8EiiiaaiEEv20rocsparse_direction_NS_24const_host_device_scalarIT1_EET3_PKS5_PKT2_SA_S7_PKT4_S5_PKT5_S4_PT6_21rocsparse_index_base_b.num_vgpr, 21
	.set _ZN9rocsparseL22bsrxmvn_general_kernelILj64ELj8EiiiaaiEEv20rocsparse_direction_NS_24const_host_device_scalarIT1_EET3_PKS5_PKT2_SA_S7_PKT4_S5_PKT5_S4_PT6_21rocsparse_index_base_b.num_agpr, 0
	.set _ZN9rocsparseL22bsrxmvn_general_kernelILj64ELj8EiiiaaiEEv20rocsparse_direction_NS_24const_host_device_scalarIT1_EET3_PKS5_PKT2_SA_S7_PKT4_S5_PKT5_S4_PT6_21rocsparse_index_base_b.numbered_sgpr, 32
	.set _ZN9rocsparseL22bsrxmvn_general_kernelILj64ELj8EiiiaaiEEv20rocsparse_direction_NS_24const_host_device_scalarIT1_EET3_PKS5_PKT2_SA_S7_PKT4_S5_PKT5_S4_PT6_21rocsparse_index_base_b.num_named_barrier, 0
	.set _ZN9rocsparseL22bsrxmvn_general_kernelILj64ELj8EiiiaaiEEv20rocsparse_direction_NS_24const_host_device_scalarIT1_EET3_PKS5_PKT2_SA_S7_PKT4_S5_PKT5_S4_PT6_21rocsparse_index_base_b.private_seg_size, 0
	.set _ZN9rocsparseL22bsrxmvn_general_kernelILj64ELj8EiiiaaiEEv20rocsparse_direction_NS_24const_host_device_scalarIT1_EET3_PKS5_PKT2_SA_S7_PKT4_S5_PKT5_S4_PT6_21rocsparse_index_base_b.uses_vcc, 1
	.set _ZN9rocsparseL22bsrxmvn_general_kernelILj64ELj8EiiiaaiEEv20rocsparse_direction_NS_24const_host_device_scalarIT1_EET3_PKS5_PKT2_SA_S7_PKT4_S5_PKT5_S4_PT6_21rocsparse_index_base_b.uses_flat_scratch, 0
	.set _ZN9rocsparseL22bsrxmvn_general_kernelILj64ELj8EiiiaaiEEv20rocsparse_direction_NS_24const_host_device_scalarIT1_EET3_PKS5_PKT2_SA_S7_PKT4_S5_PKT5_S4_PT6_21rocsparse_index_base_b.has_dyn_sized_stack, 0
	.set _ZN9rocsparseL22bsrxmvn_general_kernelILj64ELj8EiiiaaiEEv20rocsparse_direction_NS_24const_host_device_scalarIT1_EET3_PKS5_PKT2_SA_S7_PKT4_S5_PKT5_S4_PT6_21rocsparse_index_base_b.has_recursion, 0
	.set _ZN9rocsparseL22bsrxmvn_general_kernelILj64ELj8EiiiaaiEEv20rocsparse_direction_NS_24const_host_device_scalarIT1_EET3_PKS5_PKT2_SA_S7_PKT4_S5_PKT5_S4_PT6_21rocsparse_index_base_b.has_indirect_call, 0
	.section	.AMDGPU.csdata,"",@progbits
; Kernel info:
; codeLenInByte = 1232
; TotalNumSgprs: 34
; NumVgprs: 21
; ScratchSize: 0
; MemoryBound: 0
; FloatMode: 240
; IeeeMode: 1
; LDSByteSize: 0 bytes/workgroup (compile time only)
; SGPRBlocks: 0
; VGPRBlocks: 2
; NumSGPRsForWavesPerEU: 34
; NumVGPRsForWavesPerEU: 21
; Occupancy: 16
; WaveLimiterHint : 1
; COMPUTE_PGM_RSRC2:SCRATCH_EN: 0
; COMPUTE_PGM_RSRC2:USER_SGPR: 2
; COMPUTE_PGM_RSRC2:TRAP_HANDLER: 0
; COMPUTE_PGM_RSRC2:TGID_X_EN: 1
; COMPUTE_PGM_RSRC2:TGID_Y_EN: 0
; COMPUTE_PGM_RSRC2:TGID_Z_EN: 0
; COMPUTE_PGM_RSRC2:TIDIG_COMP_CNT: 0
	.section	.text._ZN9rocsparseL22bsrxmvn_general_kernelILj256ELj16EiiiaaiEEv20rocsparse_direction_NS_24const_host_device_scalarIT1_EET3_PKS5_PKT2_SA_S7_PKT4_S5_PKT5_S4_PT6_21rocsparse_index_base_b,"axG",@progbits,_ZN9rocsparseL22bsrxmvn_general_kernelILj256ELj16EiiiaaiEEv20rocsparse_direction_NS_24const_host_device_scalarIT1_EET3_PKS5_PKT2_SA_S7_PKT4_S5_PKT5_S4_PT6_21rocsparse_index_base_b,comdat
	.globl	_ZN9rocsparseL22bsrxmvn_general_kernelILj256ELj16EiiiaaiEEv20rocsparse_direction_NS_24const_host_device_scalarIT1_EET3_PKS5_PKT2_SA_S7_PKT4_S5_PKT5_S4_PT6_21rocsparse_index_base_b ; -- Begin function _ZN9rocsparseL22bsrxmvn_general_kernelILj256ELj16EiiiaaiEEv20rocsparse_direction_NS_24const_host_device_scalarIT1_EET3_PKS5_PKT2_SA_S7_PKT4_S5_PKT5_S4_PT6_21rocsparse_index_base_b
	.p2align	8
	.type	_ZN9rocsparseL22bsrxmvn_general_kernelILj256ELj16EiiiaaiEEv20rocsparse_direction_NS_24const_host_device_scalarIT1_EET3_PKS5_PKT2_SA_S7_PKT4_S5_PKT5_S4_PT6_21rocsparse_index_base_b,@function
_ZN9rocsparseL22bsrxmvn_general_kernelILj256ELj16EiiiaaiEEv20rocsparse_direction_NS_24const_host_device_scalarIT1_EET3_PKS5_PKT2_SA_S7_PKT4_S5_PKT5_S4_PT6_21rocsparse_index_base_b: ; @_ZN9rocsparseL22bsrxmvn_general_kernelILj256ELj16EiiiaaiEEv20rocsparse_direction_NS_24const_host_device_scalarIT1_EET3_PKS5_PKT2_SA_S7_PKT4_S5_PKT5_S4_PT6_21rocsparse_index_base_b
; %bb.0:
	s_clause 0x1
	s_load_b64 s[2:3], s[0:1], 0x60
	s_load_b64 s[6:7], s[0:1], 0x8
	s_mov_b32 s9, -1
	s_wait_kmcnt 0x0
	s_bitcmp1_b32 s3, 0
	s_cselect_b32 s3, -1, 0
	s_delay_alu instid0(SALU_CYCLE_1) | instskip(NEXT) | instid1(SALU_CYCLE_1)
	s_xor_b32 s8, s3, -1
                                        ; implicit-def: $sgpr3
	s_and_b32 vcc_lo, exec_lo, s8
	s_cbranch_vccnz .LBB37_4
; %bb.1:
	s_load_b64 s[4:5], s[0:1], 0x50
	s_and_not1_b32 vcc_lo, exec_lo, s9
	s_cbranch_vccz .LBB37_5
.LBB37_2:
	s_and_b32 vcc_lo, exec_lo, s8
	s_cbranch_vccz .LBB37_6
.LBB37_3:
	s_wait_kmcnt 0x0
	s_load_b32 s22, s[4:5], 0x0
	s_cbranch_execz .LBB37_7
	s_branch .LBB37_8
.LBB37_4:
	s_load_b32 s3, s[6:7], 0x0
	s_load_b64 s[4:5], s[0:1], 0x50
	s_cbranch_execnz .LBB37_2
.LBB37_5:
	s_wait_kmcnt 0x0
	s_mov_b32 s3, s6
	s_and_b32 vcc_lo, exec_lo, s8
	s_cbranch_vccnz .LBB37_3
.LBB37_6:
	s_wait_kmcnt 0x0
                                        ; implicit-def: $sgpr22
.LBB37_7:
	s_wait_kmcnt 0x0
	s_mov_b32 s22, s4
.LBB37_8:
	s_cmp_lg_u32 s3, 0
	s_cselect_b32 s4, -1, 0
	s_wait_kmcnt 0x0
	s_cmp_lg_u32 s22, 1
	s_cselect_b32 s5, -1, 0
	s_delay_alu instid0(SALU_CYCLE_1) | instskip(NEXT) | instid1(SALU_CYCLE_1)
	s_or_b32 s4, s4, s5
	s_and_not1_b32 vcc_lo, exec_lo, s4
	s_cbranch_vccnz .LBB37_31
; %bb.9:
	s_load_b64 s[4:5], s[0:1], 0x18
	s_wait_kmcnt 0x0
	s_cmp_eq_u64 s[4:5], 0
	s_cbranch_scc1 .LBB37_11
; %bb.10:
	s_mov_b32 s6, ttmp9
	s_ashr_i32 s7, ttmp9, 31
	s_delay_alu instid0(SALU_CYCLE_1) | instskip(NEXT) | instid1(SALU_CYCLE_1)
	s_lshl_b64 s[6:7], s[6:7], 2
	s_add_nc_u64 s[4:5], s[4:5], s[6:7]
	s_load_b32 s4, s[4:5], 0x0
	s_wait_kmcnt 0x0
	s_sub_co_i32 s18, s4, s2
	s_branch .LBB37_12
.LBB37_11:
	s_mov_b32 s18, ttmp9
.LBB37_12:
	s_load_b32 s12, s[0:1], 0x40
	v_lshrrev_b32_e32 v1, 4, v0
	s_mov_b32 s4, exec_lo
	s_wait_kmcnt 0x0
	s_delay_alu instid0(VALU_DEP_1)
	v_cmpx_gt_i32_e64 s12, v1
	s_cbranch_execz .LBB37_31
; %bb.13:
	s_load_b256 s[4:11], s[0:1], 0x20
	s_ashr_i32 s19, s18, 31
	v_dual_mov_b32 v4, 0 :: v_dual_and_b32 v3, 15, v0
	s_lshl_b64 s[16:17], s[18:19], 2
	v_mbcnt_lo_u32_b32 v0, -1, 0
	s_load_b32 s25, s[0:1], 0x0
	v_mul_lo_u32 v11, s12, v1
	v_mul_lo_u32 v12, s12, v3
	s_mov_b32 s13, 0
	v_xor_b32_e32 v2, 8, v0
	v_xor_b32_e32 v5, 4, v0
	;; [unrolled: 1-line block ×4, first 2 shown]
	s_mul_i32 s27, s18, s12
	v_cmp_gt_i32_e32 vcc_lo, 32, v2
	v_cndmask_b32_e32 v2, v0, v2, vcc_lo
	s_wait_kmcnt 0x0
	s_add_nc_u64 s[20:21], s[4:5], s[16:17]
	s_load_b32 s19, s[20:21], 0x0
	s_clause 0x1
	s_load_b64 s[4:5], s[0:1], 0x58
	s_load_b64 s[14:15], s[0:1], 0x48
	s_add_nc_u64 s[0:1], s[6:7], s[16:17]
	s_add_nc_u64 s[20:21], s[20:21], 4
	v_cmp_gt_i32_e32 vcc_lo, 32, v5
	v_lshlrev_b32_e32 v13, 2, v2
	s_wait_alu 0xfffd
	v_cndmask_b32_e32 v5, v0, v5, vcc_lo
	v_cmp_gt_i32_e32 vcc_lo, 32, v6
	s_wait_alu 0xfffd
	v_cndmask_b32_e32 v6, v0, v6, vcc_lo
	v_cmp_gt_i32_e32 vcc_lo, 32, v7
	s_wait_kmcnt 0x0
	s_sub_co_i32 s16, s19, s2
	s_cmp_eq_u64 s[6:7], 0
	s_wait_alu 0xfffd
	v_cndmask_b32_e32 v0, v0, v7, vcc_lo
	s_cselect_b32 s1, s21, s1
	s_cselect_b32 s0, s20, s0
	v_lshlrev_b32_e32 v15, 2, v6
	s_load_b32 s17, s[0:1], 0x0
	v_cmp_gt_u32_e64 s0, s12, v3
	v_cmp_eq_u32_e64 s1, 15, v3
	v_lshlrev_b32_e32 v16, 2, v0
	v_lshlrev_b32_e32 v14, 2, v5
	s_mul_u64 s[6:7], s[12:13], s[12:13]
	s_wait_kmcnt 0x0
	s_sub_co_i32 s23, s17, s2
	s_cmp_lt_i32 s19, s17
	s_cselect_b32 s24, -1, 0
	s_cmp_lg_u32 s25, 0
	s_cselect_b32 s25, -1, 0
	s_cmp_lg_u32 s22, 0
	s_cselect_b32 s26, -1, 0
	s_ashr_i32 s17, s16, 31
	s_delay_alu instid0(SALU_CYCLE_1)
	s_mul_u64 s[18:19], s[16:17], s[6:7]
	s_lshl_b32 s17, s12, 4
	s_branch .LBB37_15
.LBB37_14:                              ;   in Loop: Header=BB37_15 Depth=1
	s_wait_alu 0xfffe
	s_or_b32 exec_lo, exec_lo, s20
	v_add_nc_u32_e32 v1, 16, v1
	v_add_nc_u32_e32 v11, s17, v11
	s_delay_alu instid0(VALU_DEP_2)
	v_cmp_le_i32_e32 vcc_lo, s12, v1
	s_or_b32 s13, vcc_lo, s13
	s_wait_alu 0xfffe
	s_and_not1_b32 exec_lo, exec_lo, s13
	s_cbranch_execz .LBB37_31
.LBB37_15:                              ; =>This Loop Header: Depth=1
                                        ;     Child Loop BB37_19 Depth 2
                                        ;       Child Loop BB37_22 Depth 3
	v_mov_b32_e32 v0, 0
	s_and_not1_b32 vcc_lo, exec_lo, s24
	s_wait_alu 0xfffe
	s_cbranch_vccnz .LBB37_26
; %bb.16:                               ;   in Loop: Header=BB37_15 Depth=1
	v_ashrrev_i32_e32 v0, 31, v11
	v_add_co_u32 v17, vcc_lo, s18, v11
	s_wait_dscnt 0x0
	v_ashrrev_i32_e32 v2, 31, v1
	s_mov_b32 s20, s16
	s_wait_alu 0xfffd
	v_add_co_ci_u32_e64 v18, null, s19, v0, vcc_lo
	v_mov_b32_e32 v0, 0
	s_branch .LBB37_19
.LBB37_17:                              ;   in Loop: Header=BB37_19 Depth=2
	s_or_b32 exec_lo, exec_lo, s21
.LBB37_18:                              ;   in Loop: Header=BB37_19 Depth=2
	s_wait_alu 0xfffe
	s_or_b32 exec_lo, exec_lo, s28
	v_add_co_u32 v17, vcc_lo, v17, s6
	s_wait_alu 0xfffd
	v_add_co_ci_u32_e64 v18, null, s7, v18, vcc_lo
	s_add_co_i32 s20, s20, 1
	s_wait_alu 0xfffe
	s_cmp_ge_i32 s20, s23
	s_cbranch_scc1 .LBB37_26
.LBB37_19:                              ;   Parent Loop BB37_15 Depth=1
                                        ; =>  This Loop Header: Depth=2
                                        ;       Child Loop BB37_22 Depth 3
	s_and_saveexec_b32 s28, s0
	s_cbranch_execz .LBB37_18
; %bb.20:                               ;   in Loop: Header=BB37_19 Depth=2
	s_wait_alu 0xfffe
	s_ashr_i32 s21, s20, 31
	v_mad_co_u64_u32 v[5:6], null, s6, s20, v[1:2]
	s_wait_alu 0xfffe
	s_lshl_b64 s[30:31], s[20:21], 2
	s_mul_i32 s21, s6, s21
	s_wait_alu 0xfffe
	s_add_nc_u64 s[30:31], s[8:9], s[30:31]
	v_dual_mov_b32 v19, v12 :: v_dual_mov_b32 v8, v4
	s_load_b32 s29, s[30:31], 0x0
	s_mul_i32 s30, s7, s20
	v_mov_b32_e32 v7, v3
	s_wait_alu 0xfffe
	v_add3_u32 v6, s21, s30, v6
	s_wait_kmcnt 0x0
	s_sub_co_i32 s21, s29, s2
	s_wait_alu 0xfffe
	s_mul_i32 s29, s21, s12
	s_mov_b32 s21, 0
	s_branch .LBB37_22
.LBB37_21:                              ;   in Loop: Header=BB37_22 Depth=3
	v_add_nc_u32_e32 v20, s29, v7
	v_add_co_u32 v9, vcc_lo, s10, v9
	s_wait_alu 0xfffd
	v_add_co_ci_u32_e64 v10, null, s11, v10, vcc_lo
	s_delay_alu instid0(VALU_DEP_3) | instskip(SKIP_3) | instid1(VALU_DEP_3)
	v_ashrrev_i32_e32 v21, 31, v20
	v_add_co_u32 v20, vcc_lo, s14, v20
	v_add_nc_u32_e32 v19, s17, v19
	s_wait_alu 0xfffd
	v_add_co_ci_u32_e64 v21, null, s15, v21, vcc_lo
	v_add_co_u32 v7, vcc_lo, v7, 16
	global_load_i8 v9, v[9:10], off
	global_load_i8 v10, v[20:21], off
	s_wait_alu 0xfffd
	v_add_co_ci_u32_e64 v8, null, 0, v8, vcc_lo
	v_cmp_le_i32_e32 vcc_lo, s12, v7
	s_or_b32 s21, vcc_lo, s21
	s_wait_loadcnt 0x0
	v_mad_i32_i24 v0, v10, v9, v0
	s_wait_alu 0xfffe
	s_and_not1_b32 exec_lo, exec_lo, s21
	s_cbranch_execz .LBB37_17
.LBB37_22:                              ;   Parent Loop BB37_15 Depth=1
                                        ;     Parent Loop BB37_19 Depth=2
                                        ; =>    This Inner Loop Header: Depth=3
	s_and_b32 vcc_lo, exec_lo, s25
	s_wait_alu 0xfffe
	s_cbranch_vccz .LBB37_24
; %bb.23:                               ;   in Loop: Header=BB37_22 Depth=3
	v_ashrrev_i32_e32 v10, 31, v19
	v_add_co_u32 v9, vcc_lo, v5, v19
	s_wait_alu 0xfffd
	s_delay_alu instid0(VALU_DEP_2)
	v_add_co_ci_u32_e64 v10, null, v6, v10, vcc_lo
	s_cbranch_execnz .LBB37_21
	s_branch .LBB37_25
.LBB37_24:                              ;   in Loop: Header=BB37_22 Depth=3
                                        ; implicit-def: $vgpr9_vgpr10
.LBB37_25:                              ;   in Loop: Header=BB37_22 Depth=3
	v_add_co_u32 v9, vcc_lo, v17, v7
	s_wait_alu 0xfffd
	v_add_co_ci_u32_e64 v10, null, v18, v8, vcc_lo
	s_branch .LBB37_21
.LBB37_26:                              ;   in Loop: Header=BB37_15 Depth=1
	s_wait_dscnt 0x0
	ds_bpermute_b32 v2, v13, v0
	s_wait_dscnt 0x0
	v_add_nc_u32_e32 v0, v2, v0
	ds_bpermute_b32 v2, v14, v0
	s_wait_dscnt 0x0
	v_add_nc_u32_e32 v0, v2, v0
	ds_bpermute_b32 v2, v15, v0
	s_wait_dscnt 0x0
	v_add_nc_u32_e32 v0, v2, v0
	ds_bpermute_b32 v2, v16, v0
	s_and_saveexec_b32 s20, s1
	s_cbranch_execz .LBB37_14
; %bb.27:                               ;   in Loop: Header=BB37_15 Depth=1
	s_wait_dscnt 0x0
	v_add_nc_u32_e32 v0, v2, v0
	v_add_nc_u32_e32 v5, s27, v1
	s_and_not1_b32 vcc_lo, exec_lo, s26
	s_delay_alu instid0(VALU_DEP_2) | instskip(NEXT) | instid1(VALU_DEP_2)
	v_mul_lo_u32 v0, v0, s3
	v_ashrrev_i32_e32 v6, 31, v5
	s_wait_alu 0xfffe
	s_cbranch_vccnz .LBB37_29
; %bb.28:                               ;   in Loop: Header=BB37_15 Depth=1
	s_delay_alu instid0(VALU_DEP_1) | instskip(NEXT) | instid1(VALU_DEP_1)
	v_lshlrev_b64_e32 v[7:8], 2, v[5:6]
	v_add_co_u32 v7, vcc_lo, s4, v7
	s_wait_alu 0xfffd
	s_delay_alu instid0(VALU_DEP_2)
	v_add_co_ci_u32_e64 v8, null, s5, v8, vcc_lo
	global_load_b32 v2, v[7:8], off
	s_wait_loadcnt 0x0
	v_mad_co_u64_u32 v[9:10], null, v2, s22, v[0:1]
	global_store_b32 v[7:8], v9, off
	s_cbranch_execnz .LBB37_14
	s_branch .LBB37_30
.LBB37_29:                              ;   in Loop: Header=BB37_15 Depth=1
.LBB37_30:                              ;   in Loop: Header=BB37_15 Depth=1
	s_delay_alu instid0(VALU_DEP_1) | instskip(NEXT) | instid1(VALU_DEP_1)
	v_lshlrev_b64_e32 v[5:6], 2, v[5:6]
	v_add_co_u32 v5, vcc_lo, s4, v5
	s_wait_alu 0xfffd
	s_delay_alu instid0(VALU_DEP_2)
	v_add_co_ci_u32_e64 v6, null, s5, v6, vcc_lo
	global_store_b32 v[5:6], v0, off
	s_branch .LBB37_14
.LBB37_31:
	s_endpgm
	.section	.rodata,"a",@progbits
	.p2align	6, 0x0
	.amdhsa_kernel _ZN9rocsparseL22bsrxmvn_general_kernelILj256ELj16EiiiaaiEEv20rocsparse_direction_NS_24const_host_device_scalarIT1_EET3_PKS5_PKT2_SA_S7_PKT4_S5_PKT5_S4_PT6_21rocsparse_index_base_b
		.amdhsa_group_segment_fixed_size 0
		.amdhsa_private_segment_fixed_size 0
		.amdhsa_kernarg_size 104
		.amdhsa_user_sgpr_count 2
		.amdhsa_user_sgpr_dispatch_ptr 0
		.amdhsa_user_sgpr_queue_ptr 0
		.amdhsa_user_sgpr_kernarg_segment_ptr 1
		.amdhsa_user_sgpr_dispatch_id 0
		.amdhsa_user_sgpr_private_segment_size 0
		.amdhsa_wavefront_size32 1
		.amdhsa_uses_dynamic_stack 0
		.amdhsa_enable_private_segment 0
		.amdhsa_system_sgpr_workgroup_id_x 1
		.amdhsa_system_sgpr_workgroup_id_y 0
		.amdhsa_system_sgpr_workgroup_id_z 0
		.amdhsa_system_sgpr_workgroup_info 0
		.amdhsa_system_vgpr_workitem_id 0
		.amdhsa_next_free_vgpr 22
		.amdhsa_next_free_sgpr 32
		.amdhsa_reserve_vcc 1
		.amdhsa_float_round_mode_32 0
		.amdhsa_float_round_mode_16_64 0
		.amdhsa_float_denorm_mode_32 3
		.amdhsa_float_denorm_mode_16_64 3
		.amdhsa_fp16_overflow 0
		.amdhsa_workgroup_processor_mode 1
		.amdhsa_memory_ordered 1
		.amdhsa_forward_progress 1
		.amdhsa_inst_pref_size 10
		.amdhsa_round_robin_scheduling 0
		.amdhsa_exception_fp_ieee_invalid_op 0
		.amdhsa_exception_fp_denorm_src 0
		.amdhsa_exception_fp_ieee_div_zero 0
		.amdhsa_exception_fp_ieee_overflow 0
		.amdhsa_exception_fp_ieee_underflow 0
		.amdhsa_exception_fp_ieee_inexact 0
		.amdhsa_exception_int_div_zero 0
	.end_amdhsa_kernel
	.section	.text._ZN9rocsparseL22bsrxmvn_general_kernelILj256ELj16EiiiaaiEEv20rocsparse_direction_NS_24const_host_device_scalarIT1_EET3_PKS5_PKT2_SA_S7_PKT4_S5_PKT5_S4_PT6_21rocsparse_index_base_b,"axG",@progbits,_ZN9rocsparseL22bsrxmvn_general_kernelILj256ELj16EiiiaaiEEv20rocsparse_direction_NS_24const_host_device_scalarIT1_EET3_PKS5_PKT2_SA_S7_PKT4_S5_PKT5_S4_PT6_21rocsparse_index_base_b,comdat
.Lfunc_end37:
	.size	_ZN9rocsparseL22bsrxmvn_general_kernelILj256ELj16EiiiaaiEEv20rocsparse_direction_NS_24const_host_device_scalarIT1_EET3_PKS5_PKT2_SA_S7_PKT4_S5_PKT5_S4_PT6_21rocsparse_index_base_b, .Lfunc_end37-_ZN9rocsparseL22bsrxmvn_general_kernelILj256ELj16EiiiaaiEEv20rocsparse_direction_NS_24const_host_device_scalarIT1_EET3_PKS5_PKT2_SA_S7_PKT4_S5_PKT5_S4_PT6_21rocsparse_index_base_b
                                        ; -- End function
	.set _ZN9rocsparseL22bsrxmvn_general_kernelILj256ELj16EiiiaaiEEv20rocsparse_direction_NS_24const_host_device_scalarIT1_EET3_PKS5_PKT2_SA_S7_PKT4_S5_PKT5_S4_PT6_21rocsparse_index_base_b.num_vgpr, 22
	.set _ZN9rocsparseL22bsrxmvn_general_kernelILj256ELj16EiiiaaiEEv20rocsparse_direction_NS_24const_host_device_scalarIT1_EET3_PKS5_PKT2_SA_S7_PKT4_S5_PKT5_S4_PT6_21rocsparse_index_base_b.num_agpr, 0
	.set _ZN9rocsparseL22bsrxmvn_general_kernelILj256ELj16EiiiaaiEEv20rocsparse_direction_NS_24const_host_device_scalarIT1_EET3_PKS5_PKT2_SA_S7_PKT4_S5_PKT5_S4_PT6_21rocsparse_index_base_b.numbered_sgpr, 32
	.set _ZN9rocsparseL22bsrxmvn_general_kernelILj256ELj16EiiiaaiEEv20rocsparse_direction_NS_24const_host_device_scalarIT1_EET3_PKS5_PKT2_SA_S7_PKT4_S5_PKT5_S4_PT6_21rocsparse_index_base_b.num_named_barrier, 0
	.set _ZN9rocsparseL22bsrxmvn_general_kernelILj256ELj16EiiiaaiEEv20rocsparse_direction_NS_24const_host_device_scalarIT1_EET3_PKS5_PKT2_SA_S7_PKT4_S5_PKT5_S4_PT6_21rocsparse_index_base_b.private_seg_size, 0
	.set _ZN9rocsparseL22bsrxmvn_general_kernelILj256ELj16EiiiaaiEEv20rocsparse_direction_NS_24const_host_device_scalarIT1_EET3_PKS5_PKT2_SA_S7_PKT4_S5_PKT5_S4_PT6_21rocsparse_index_base_b.uses_vcc, 1
	.set _ZN9rocsparseL22bsrxmvn_general_kernelILj256ELj16EiiiaaiEEv20rocsparse_direction_NS_24const_host_device_scalarIT1_EET3_PKS5_PKT2_SA_S7_PKT4_S5_PKT5_S4_PT6_21rocsparse_index_base_b.uses_flat_scratch, 0
	.set _ZN9rocsparseL22bsrxmvn_general_kernelILj256ELj16EiiiaaiEEv20rocsparse_direction_NS_24const_host_device_scalarIT1_EET3_PKS5_PKT2_SA_S7_PKT4_S5_PKT5_S4_PT6_21rocsparse_index_base_b.has_dyn_sized_stack, 0
	.set _ZN9rocsparseL22bsrxmvn_general_kernelILj256ELj16EiiiaaiEEv20rocsparse_direction_NS_24const_host_device_scalarIT1_EET3_PKS5_PKT2_SA_S7_PKT4_S5_PKT5_S4_PT6_21rocsparse_index_base_b.has_recursion, 0
	.set _ZN9rocsparseL22bsrxmvn_general_kernelILj256ELj16EiiiaaiEEv20rocsparse_direction_NS_24const_host_device_scalarIT1_EET3_PKS5_PKT2_SA_S7_PKT4_S5_PKT5_S4_PT6_21rocsparse_index_base_b.has_indirect_call, 0
	.section	.AMDGPU.csdata,"",@progbits
; Kernel info:
; codeLenInByte = 1256
; TotalNumSgprs: 34
; NumVgprs: 22
; ScratchSize: 0
; MemoryBound: 0
; FloatMode: 240
; IeeeMode: 1
; LDSByteSize: 0 bytes/workgroup (compile time only)
; SGPRBlocks: 0
; VGPRBlocks: 2
; NumSGPRsForWavesPerEU: 34
; NumVGPRsForWavesPerEU: 22
; Occupancy: 16
; WaveLimiterHint : 1
; COMPUTE_PGM_RSRC2:SCRATCH_EN: 0
; COMPUTE_PGM_RSRC2:USER_SGPR: 2
; COMPUTE_PGM_RSRC2:TRAP_HANDLER: 0
; COMPUTE_PGM_RSRC2:TGID_X_EN: 1
; COMPUTE_PGM_RSRC2:TGID_Y_EN: 0
; COMPUTE_PGM_RSRC2:TGID_Z_EN: 0
; COMPUTE_PGM_RSRC2:TIDIG_COMP_CNT: 0
	.section	.text._ZN9rocsparseL22bsrxmvn_general_kernelILj1024ELj32EiiiaaiEEv20rocsparse_direction_NS_24const_host_device_scalarIT1_EET3_PKS5_PKT2_SA_S7_PKT4_S5_PKT5_S4_PT6_21rocsparse_index_base_b,"axG",@progbits,_ZN9rocsparseL22bsrxmvn_general_kernelILj1024ELj32EiiiaaiEEv20rocsparse_direction_NS_24const_host_device_scalarIT1_EET3_PKS5_PKT2_SA_S7_PKT4_S5_PKT5_S4_PT6_21rocsparse_index_base_b,comdat
	.globl	_ZN9rocsparseL22bsrxmvn_general_kernelILj1024ELj32EiiiaaiEEv20rocsparse_direction_NS_24const_host_device_scalarIT1_EET3_PKS5_PKT2_SA_S7_PKT4_S5_PKT5_S4_PT6_21rocsparse_index_base_b ; -- Begin function _ZN9rocsparseL22bsrxmvn_general_kernelILj1024ELj32EiiiaaiEEv20rocsparse_direction_NS_24const_host_device_scalarIT1_EET3_PKS5_PKT2_SA_S7_PKT4_S5_PKT5_S4_PT6_21rocsparse_index_base_b
	.p2align	8
	.type	_ZN9rocsparseL22bsrxmvn_general_kernelILj1024ELj32EiiiaaiEEv20rocsparse_direction_NS_24const_host_device_scalarIT1_EET3_PKS5_PKT2_SA_S7_PKT4_S5_PKT5_S4_PT6_21rocsparse_index_base_b,@function
_ZN9rocsparseL22bsrxmvn_general_kernelILj1024ELj32EiiiaaiEEv20rocsparse_direction_NS_24const_host_device_scalarIT1_EET3_PKS5_PKT2_SA_S7_PKT4_S5_PKT5_S4_PT6_21rocsparse_index_base_b: ; @_ZN9rocsparseL22bsrxmvn_general_kernelILj1024ELj32EiiiaaiEEv20rocsparse_direction_NS_24const_host_device_scalarIT1_EET3_PKS5_PKT2_SA_S7_PKT4_S5_PKT5_S4_PT6_21rocsparse_index_base_b
; %bb.0:
	s_clause 0x1
	s_load_b64 s[2:3], s[0:1], 0x60
	s_load_b64 s[6:7], s[0:1], 0x8
	s_mov_b32 s9, -1
	s_wait_kmcnt 0x0
	s_bitcmp1_b32 s3, 0
	s_cselect_b32 s3, -1, 0
	s_delay_alu instid0(SALU_CYCLE_1) | instskip(NEXT) | instid1(SALU_CYCLE_1)
	s_xor_b32 s8, s3, -1
                                        ; implicit-def: $sgpr3
	s_and_b32 vcc_lo, exec_lo, s8
	s_cbranch_vccnz .LBB38_4
; %bb.1:
	s_load_b64 s[4:5], s[0:1], 0x50
	s_and_not1_b32 vcc_lo, exec_lo, s9
	s_cbranch_vccz .LBB38_5
.LBB38_2:
	s_and_b32 vcc_lo, exec_lo, s8
	s_cbranch_vccz .LBB38_6
.LBB38_3:
	s_wait_kmcnt 0x0
	s_load_b32 s22, s[4:5], 0x0
	s_cbranch_execz .LBB38_7
	s_branch .LBB38_8
.LBB38_4:
	s_load_b32 s3, s[6:7], 0x0
	s_load_b64 s[4:5], s[0:1], 0x50
	s_cbranch_execnz .LBB38_2
.LBB38_5:
	s_wait_kmcnt 0x0
	s_mov_b32 s3, s6
	s_and_b32 vcc_lo, exec_lo, s8
	s_cbranch_vccnz .LBB38_3
.LBB38_6:
	s_wait_kmcnt 0x0
                                        ; implicit-def: $sgpr22
.LBB38_7:
	s_wait_kmcnt 0x0
	s_mov_b32 s22, s4
.LBB38_8:
	s_cmp_lg_u32 s3, 0
	s_cselect_b32 s4, -1, 0
	s_wait_kmcnt 0x0
	s_cmp_lg_u32 s22, 1
	s_cselect_b32 s5, -1, 0
	s_delay_alu instid0(SALU_CYCLE_1) | instskip(NEXT) | instid1(SALU_CYCLE_1)
	s_or_b32 s4, s4, s5
	s_and_not1_b32 vcc_lo, exec_lo, s4
	s_cbranch_vccnz .LBB38_31
; %bb.9:
	s_load_b64 s[4:5], s[0:1], 0x18
	s_wait_kmcnt 0x0
	s_cmp_eq_u64 s[4:5], 0
	s_cbranch_scc1 .LBB38_11
; %bb.10:
	s_mov_b32 s6, ttmp9
	s_ashr_i32 s7, ttmp9, 31
	s_delay_alu instid0(SALU_CYCLE_1) | instskip(NEXT) | instid1(SALU_CYCLE_1)
	s_lshl_b64 s[6:7], s[6:7], 2
	s_add_nc_u64 s[4:5], s[4:5], s[6:7]
	s_load_b32 s4, s[4:5], 0x0
	s_wait_kmcnt 0x0
	s_sub_co_i32 s20, s4, s2
	s_branch .LBB38_12
.LBB38_11:
	s_mov_b32 s20, ttmp9
.LBB38_12:
	s_load_b32 s12, s[0:1], 0x40
	v_lshrrev_b32_e32 v1, 5, v0
	s_mov_b32 s4, exec_lo
	s_wait_kmcnt 0x0
	s_delay_alu instid0(VALU_DEP_1)
	v_cmpx_gt_i32_e64 s12, v1
	s_cbranch_execz .LBB38_31
; %bb.13:
	s_load_b256 s[4:11], s[0:1], 0x20
	s_ashr_i32 s21, s20, 31
	v_dual_mov_b32 v2, 0 :: v_dual_and_b32 v3, 31, v0
	s_lshl_b64 s[18:19], s[20:21], 2
	v_mbcnt_lo_u32_b32 v0, -1, 0
	s_load_b32 s28, s[0:1], 0x0
	v_mul_lo_u32 v11, s12, v1
	v_mul_lo_u32 v12, s12, v3
	s_mov_b32 s13, 0
	v_xor_b32_e32 v5, 16, v0
	v_xor_b32_e32 v6, 8, v0
	;; [unrolled: 1-line block ×5, first 2 shown]
	v_cmp_gt_i32_e32 vcc_lo, 32, v5
	v_mov_b32_e32 v4, v2
	s_wait_alu 0xfffe
	s_mul_u64 s[16:17], s[12:13], s[12:13]
	v_cndmask_b32_e32 v5, v0, v5, vcc_lo
	s_wait_kmcnt 0x0
	s_add_nc_u64 s[24:25], s[4:5], s[18:19]
	s_load_b32 s21, s[24:25], 0x0
	s_clause 0x1
	s_load_b64 s[4:5], s[0:1], 0x58
	s_load_b64 s[14:15], s[0:1], 0x48
	s_add_nc_u64 s[26:27], s[6:7], s[18:19]
	s_add_nc_u64 s[24:25], s[24:25], 4
	v_cmp_gt_i32_e32 vcc_lo, 32, v6
	v_lshlrev_b32_e32 v13, 2, v5
	v_cmp_gt_u32_e64 s0, s12, v3
	v_cmp_eq_u32_e64 s1, 31, v3
	s_wait_alu 0xfffd
	v_cndmask_b32_e32 v6, v0, v6, vcc_lo
	v_cmp_gt_i32_e32 vcc_lo, 32, v7
	s_wait_alu 0xfffd
	s_delay_alu instid0(VALU_DEP_2)
	v_dual_cndmask_b32 v7, v0, v7 :: v_dual_lshlrev_b32 v14, 2, v6
	v_cmp_gt_i32_e32 vcc_lo, 32, v8
	s_wait_kmcnt 0x0
	s_sub_co_i32 s18, s21, s2
	s_cmp_eq_u64 s[6:7], 0
	s_wait_alu 0xfffd
	v_dual_cndmask_b32 v8, v0, v8 :: v_dual_lshlrev_b32 v15, 2, v7
	s_cselect_b32 s7, s25, s27
	s_cselect_b32 s6, s24, s26
	v_cmp_gt_i32_e32 vcc_lo, 32, v9
	s_load_b32 s6, s[6:7], 0x0
	v_lshlrev_b32_e32 v16, 2, v8
	s_mul_i32 s27, s20, s12
	v_cndmask_b32_e32 v0, v0, v9, vcc_lo
	s_delay_alu instid0(VALU_DEP_1)
	v_lshlrev_b32_e32 v17, 2, v0
	s_wait_kmcnt 0x0
	s_sub_co_i32 s23, s6, s2
	s_cmp_lt_i32 s21, s6
	s_cselect_b32 s24, -1, 0
	s_cmp_lg_u32 s28, 0
	s_cselect_b32 s25, -1, 0
	s_cmp_lg_u32 s22, 0
	s_cselect_b32 s26, -1, 0
	s_ashr_i32 s19, s18, 31
	s_delay_alu instid0(SALU_CYCLE_1)
	s_mul_u64 s[6:7], s[18:19], s[16:17]
	s_lshl_b32 s19, s12, 5
	s_branch .LBB38_15
.LBB38_14:                              ;   in Loop: Header=BB38_15 Depth=1
	s_wait_alu 0xfffe
	s_or_b32 exec_lo, exec_lo, s20
	v_add_nc_u32_e32 v1, 32, v1
	v_add_nc_u32_e32 v11, s19, v11
	s_delay_alu instid0(VALU_DEP_2)
	v_cmp_le_i32_e32 vcc_lo, s12, v1
	s_or_b32 s13, vcc_lo, s13
	s_wait_alu 0xfffe
	s_and_not1_b32 exec_lo, exec_lo, s13
	s_cbranch_execz .LBB38_31
.LBB38_15:                              ; =>This Loop Header: Depth=1
                                        ;     Child Loop BB38_19 Depth 2
                                        ;       Child Loop BB38_22 Depth 3
	v_mov_b32_e32 v0, 0
	s_and_not1_b32 vcc_lo, exec_lo, s24
	s_wait_alu 0xfffe
	s_cbranch_vccnz .LBB38_26
; %bb.16:                               ;   in Loop: Header=BB38_15 Depth=1
	v_ashrrev_i32_e32 v0, 31, v11
	v_add_co_u32 v18, vcc_lo, s6, v11
	s_mov_b32 s20, s18
	s_wait_alu 0xfffd
	v_add_co_ci_u32_e64 v19, null, s7, v0, vcc_lo
	v_mov_b32_e32 v0, 0
	s_branch .LBB38_19
.LBB38_17:                              ;   in Loop: Header=BB38_19 Depth=2
	s_or_b32 exec_lo, exec_lo, s21
.LBB38_18:                              ;   in Loop: Header=BB38_19 Depth=2
	s_wait_alu 0xfffe
	s_or_b32 exec_lo, exec_lo, s28
	v_add_co_u32 v18, vcc_lo, v18, s16
	s_wait_alu 0xfffd
	v_add_co_ci_u32_e64 v19, null, s17, v19, vcc_lo
	s_add_co_i32 s20, s20, 1
	s_wait_alu 0xfffe
	s_cmp_ge_i32 s20, s23
	s_cbranch_scc1 .LBB38_26
.LBB38_19:                              ;   Parent Loop BB38_15 Depth=1
                                        ; =>  This Loop Header: Depth=2
                                        ;       Child Loop BB38_22 Depth 3
	s_and_saveexec_b32 s28, s0
	s_cbranch_execz .LBB38_18
; %bb.20:                               ;   in Loop: Header=BB38_19 Depth=2
	s_wait_alu 0xfffe
	s_ashr_i32 s21, s20, 31
	s_wait_dscnt 0x0
	v_mad_co_u64_u32 v[5:6], null, s16, s20, v[1:2]
	s_wait_alu 0xfffe
	s_lshl_b64 s[30:31], s[20:21], 2
	s_mul_i32 s21, s16, s21
	s_wait_alu 0xfffe
	s_add_nc_u64 s[30:31], s[8:9], s[30:31]
	v_mov_b32_e32 v8, v4
	s_load_b32 s29, s[30:31], 0x0
	s_mul_i32 s30, s17, s20
	v_dual_mov_b32 v20, v12 :: v_dual_mov_b32 v7, v3
	s_wait_alu 0xfffe
	v_add3_u32 v6, s21, s30, v6
	s_wait_kmcnt 0x0
	s_sub_co_i32 s21, s29, s2
	s_wait_alu 0xfffe
	s_mul_i32 s29, s21, s12
	s_mov_b32 s21, 0
	s_branch .LBB38_22
.LBB38_21:                              ;   in Loop: Header=BB38_22 Depth=3
	v_add_nc_u32_e32 v21, s29, v7
	v_add_co_u32 v9, vcc_lo, s10, v9
	s_wait_alu 0xfffd
	v_add_co_ci_u32_e64 v10, null, s11, v10, vcc_lo
	s_delay_alu instid0(VALU_DEP_3) | instskip(SKIP_3) | instid1(VALU_DEP_3)
	v_ashrrev_i32_e32 v22, 31, v21
	v_add_co_u32 v21, vcc_lo, s14, v21
	v_add_nc_u32_e32 v20, s19, v20
	s_wait_alu 0xfffd
	v_add_co_ci_u32_e64 v22, null, s15, v22, vcc_lo
	v_add_co_u32 v7, vcc_lo, v7, 32
	global_load_i8 v9, v[9:10], off
	global_load_i8 v10, v[21:22], off
	s_wait_alu 0xfffd
	v_add_co_ci_u32_e64 v8, null, 0, v8, vcc_lo
	v_cmp_le_i32_e32 vcc_lo, s12, v7
	s_or_b32 s21, vcc_lo, s21
	s_wait_loadcnt 0x0
	v_mad_i32_i24 v0, v10, v9, v0
	s_wait_alu 0xfffe
	s_and_not1_b32 exec_lo, exec_lo, s21
	s_cbranch_execz .LBB38_17
.LBB38_22:                              ;   Parent Loop BB38_15 Depth=1
                                        ;     Parent Loop BB38_19 Depth=2
                                        ; =>    This Inner Loop Header: Depth=3
	s_and_b32 vcc_lo, exec_lo, s25
	s_wait_alu 0xfffe
	s_cbranch_vccz .LBB38_24
; %bb.23:                               ;   in Loop: Header=BB38_22 Depth=3
	v_ashrrev_i32_e32 v10, 31, v20
	v_add_co_u32 v9, vcc_lo, v5, v20
	s_wait_alu 0xfffd
	s_delay_alu instid0(VALU_DEP_2)
	v_add_co_ci_u32_e64 v10, null, v6, v10, vcc_lo
	s_cbranch_execnz .LBB38_21
	s_branch .LBB38_25
.LBB38_24:                              ;   in Loop: Header=BB38_22 Depth=3
                                        ; implicit-def: $vgpr9_vgpr10
.LBB38_25:                              ;   in Loop: Header=BB38_22 Depth=3
	v_add_co_u32 v9, vcc_lo, v18, v7
	s_wait_alu 0xfffd
	v_add_co_ci_u32_e64 v10, null, v19, v8, vcc_lo
	s_branch .LBB38_21
.LBB38_26:                              ;   in Loop: Header=BB38_15 Depth=1
	s_wait_dscnt 0x0
	ds_bpermute_b32 v5, v13, v0
	s_wait_dscnt 0x0
	v_add_nc_u32_e32 v0, v5, v0
	ds_bpermute_b32 v5, v14, v0
	s_wait_dscnt 0x0
	v_add_nc_u32_e32 v0, v5, v0
	;; [unrolled: 3-line block ×4, first 2 shown]
	ds_bpermute_b32 v5, v17, v0
	s_and_saveexec_b32 s20, s1
	s_cbranch_execz .LBB38_14
; %bb.27:                               ;   in Loop: Header=BB38_15 Depth=1
	s_wait_dscnt 0x0
	v_add_nc_u32_e32 v0, v5, v0
	v_add_nc_u32_e32 v5, s27, v1
	s_and_not1_b32 vcc_lo, exec_lo, s26
	s_delay_alu instid0(VALU_DEP_2) | instskip(NEXT) | instid1(VALU_DEP_2)
	v_mul_lo_u32 v0, v0, s3
	v_ashrrev_i32_e32 v6, 31, v5
	s_wait_alu 0xfffe
	s_cbranch_vccnz .LBB38_29
; %bb.28:                               ;   in Loop: Header=BB38_15 Depth=1
	s_delay_alu instid0(VALU_DEP_1) | instskip(NEXT) | instid1(VALU_DEP_1)
	v_lshlrev_b64_e32 v[7:8], 2, v[5:6]
	v_add_co_u32 v7, vcc_lo, s4, v7
	s_wait_alu 0xfffd
	s_delay_alu instid0(VALU_DEP_2)
	v_add_co_ci_u32_e64 v8, null, s5, v8, vcc_lo
	global_load_b32 v9, v[7:8], off
	s_wait_loadcnt 0x0
	v_mad_co_u64_u32 v[9:10], null, v9, s22, v[0:1]
	global_store_b32 v[7:8], v9, off
	s_cbranch_execnz .LBB38_14
	s_branch .LBB38_30
.LBB38_29:                              ;   in Loop: Header=BB38_15 Depth=1
.LBB38_30:                              ;   in Loop: Header=BB38_15 Depth=1
	s_delay_alu instid0(VALU_DEP_1) | instskip(NEXT) | instid1(VALU_DEP_1)
	v_lshlrev_b64_e32 v[5:6], 2, v[5:6]
	v_add_co_u32 v5, vcc_lo, s4, v5
	s_wait_alu 0xfffd
	s_delay_alu instid0(VALU_DEP_2)
	v_add_co_ci_u32_e64 v6, null, s5, v6, vcc_lo
	global_store_b32 v[5:6], v0, off
	s_branch .LBB38_14
.LBB38_31:
	s_endpgm
	.section	.rodata,"a",@progbits
	.p2align	6, 0x0
	.amdhsa_kernel _ZN9rocsparseL22bsrxmvn_general_kernelILj1024ELj32EiiiaaiEEv20rocsparse_direction_NS_24const_host_device_scalarIT1_EET3_PKS5_PKT2_SA_S7_PKT4_S5_PKT5_S4_PT6_21rocsparse_index_base_b
		.amdhsa_group_segment_fixed_size 0
		.amdhsa_private_segment_fixed_size 0
		.amdhsa_kernarg_size 104
		.amdhsa_user_sgpr_count 2
		.amdhsa_user_sgpr_dispatch_ptr 0
		.amdhsa_user_sgpr_queue_ptr 0
		.amdhsa_user_sgpr_kernarg_segment_ptr 1
		.amdhsa_user_sgpr_dispatch_id 0
		.amdhsa_user_sgpr_private_segment_size 0
		.amdhsa_wavefront_size32 1
		.amdhsa_uses_dynamic_stack 0
		.amdhsa_enable_private_segment 0
		.amdhsa_system_sgpr_workgroup_id_x 1
		.amdhsa_system_sgpr_workgroup_id_y 0
		.amdhsa_system_sgpr_workgroup_id_z 0
		.amdhsa_system_sgpr_workgroup_info 0
		.amdhsa_system_vgpr_workitem_id 0
		.amdhsa_next_free_vgpr 23
		.amdhsa_next_free_sgpr 32
		.amdhsa_reserve_vcc 1
		.amdhsa_float_round_mode_32 0
		.amdhsa_float_round_mode_16_64 0
		.amdhsa_float_denorm_mode_32 3
		.amdhsa_float_denorm_mode_16_64 3
		.amdhsa_fp16_overflow 0
		.amdhsa_workgroup_processor_mode 1
		.amdhsa_memory_ordered 1
		.amdhsa_forward_progress 1
		.amdhsa_inst_pref_size 11
		.amdhsa_round_robin_scheduling 0
		.amdhsa_exception_fp_ieee_invalid_op 0
		.amdhsa_exception_fp_denorm_src 0
		.amdhsa_exception_fp_ieee_div_zero 0
		.amdhsa_exception_fp_ieee_overflow 0
		.amdhsa_exception_fp_ieee_underflow 0
		.amdhsa_exception_fp_ieee_inexact 0
		.amdhsa_exception_int_div_zero 0
	.end_amdhsa_kernel
	.section	.text._ZN9rocsparseL22bsrxmvn_general_kernelILj1024ELj32EiiiaaiEEv20rocsparse_direction_NS_24const_host_device_scalarIT1_EET3_PKS5_PKT2_SA_S7_PKT4_S5_PKT5_S4_PT6_21rocsparse_index_base_b,"axG",@progbits,_ZN9rocsparseL22bsrxmvn_general_kernelILj1024ELj32EiiiaaiEEv20rocsparse_direction_NS_24const_host_device_scalarIT1_EET3_PKS5_PKT2_SA_S7_PKT4_S5_PKT5_S4_PT6_21rocsparse_index_base_b,comdat
.Lfunc_end38:
	.size	_ZN9rocsparseL22bsrxmvn_general_kernelILj1024ELj32EiiiaaiEEv20rocsparse_direction_NS_24const_host_device_scalarIT1_EET3_PKS5_PKT2_SA_S7_PKT4_S5_PKT5_S4_PT6_21rocsparse_index_base_b, .Lfunc_end38-_ZN9rocsparseL22bsrxmvn_general_kernelILj1024ELj32EiiiaaiEEv20rocsparse_direction_NS_24const_host_device_scalarIT1_EET3_PKS5_PKT2_SA_S7_PKT4_S5_PKT5_S4_PT6_21rocsparse_index_base_b
                                        ; -- End function
	.set _ZN9rocsparseL22bsrxmvn_general_kernelILj1024ELj32EiiiaaiEEv20rocsparse_direction_NS_24const_host_device_scalarIT1_EET3_PKS5_PKT2_SA_S7_PKT4_S5_PKT5_S4_PT6_21rocsparse_index_base_b.num_vgpr, 23
	.set _ZN9rocsparseL22bsrxmvn_general_kernelILj1024ELj32EiiiaaiEEv20rocsparse_direction_NS_24const_host_device_scalarIT1_EET3_PKS5_PKT2_SA_S7_PKT4_S5_PKT5_S4_PT6_21rocsparse_index_base_b.num_agpr, 0
	.set _ZN9rocsparseL22bsrxmvn_general_kernelILj1024ELj32EiiiaaiEEv20rocsparse_direction_NS_24const_host_device_scalarIT1_EET3_PKS5_PKT2_SA_S7_PKT4_S5_PKT5_S4_PT6_21rocsparse_index_base_b.numbered_sgpr, 32
	.set _ZN9rocsparseL22bsrxmvn_general_kernelILj1024ELj32EiiiaaiEEv20rocsparse_direction_NS_24const_host_device_scalarIT1_EET3_PKS5_PKT2_SA_S7_PKT4_S5_PKT5_S4_PT6_21rocsparse_index_base_b.num_named_barrier, 0
	.set _ZN9rocsparseL22bsrxmvn_general_kernelILj1024ELj32EiiiaaiEEv20rocsparse_direction_NS_24const_host_device_scalarIT1_EET3_PKS5_PKT2_SA_S7_PKT4_S5_PKT5_S4_PT6_21rocsparse_index_base_b.private_seg_size, 0
	.set _ZN9rocsparseL22bsrxmvn_general_kernelILj1024ELj32EiiiaaiEEv20rocsparse_direction_NS_24const_host_device_scalarIT1_EET3_PKS5_PKT2_SA_S7_PKT4_S5_PKT5_S4_PT6_21rocsparse_index_base_b.uses_vcc, 1
	.set _ZN9rocsparseL22bsrxmvn_general_kernelILj1024ELj32EiiiaaiEEv20rocsparse_direction_NS_24const_host_device_scalarIT1_EET3_PKS5_PKT2_SA_S7_PKT4_S5_PKT5_S4_PT6_21rocsparse_index_base_b.uses_flat_scratch, 0
	.set _ZN9rocsparseL22bsrxmvn_general_kernelILj1024ELj32EiiiaaiEEv20rocsparse_direction_NS_24const_host_device_scalarIT1_EET3_PKS5_PKT2_SA_S7_PKT4_S5_PKT5_S4_PT6_21rocsparse_index_base_b.has_dyn_sized_stack, 0
	.set _ZN9rocsparseL22bsrxmvn_general_kernelILj1024ELj32EiiiaaiEEv20rocsparse_direction_NS_24const_host_device_scalarIT1_EET3_PKS5_PKT2_SA_S7_PKT4_S5_PKT5_S4_PT6_21rocsparse_index_base_b.has_recursion, 0
	.set _ZN9rocsparseL22bsrxmvn_general_kernelILj1024ELj32EiiiaaiEEv20rocsparse_direction_NS_24const_host_device_scalarIT1_EET3_PKS5_PKT2_SA_S7_PKT4_S5_PKT5_S4_PT6_21rocsparse_index_base_b.has_indirect_call, 0
	.section	.AMDGPU.csdata,"",@progbits
; Kernel info:
; codeLenInByte = 1300
; TotalNumSgprs: 34
; NumVgprs: 23
; ScratchSize: 0
; MemoryBound: 0
; FloatMode: 240
; IeeeMode: 1
; LDSByteSize: 0 bytes/workgroup (compile time only)
; SGPRBlocks: 0
; VGPRBlocks: 2
; NumSGPRsForWavesPerEU: 34
; NumVGPRsForWavesPerEU: 23
; Occupancy: 16
; WaveLimiterHint : 1
; COMPUTE_PGM_RSRC2:SCRATCH_EN: 0
; COMPUTE_PGM_RSRC2:USER_SGPR: 2
; COMPUTE_PGM_RSRC2:TRAP_HANDLER: 0
; COMPUTE_PGM_RSRC2:TGID_X_EN: 1
; COMPUTE_PGM_RSRC2:TGID_Y_EN: 0
; COMPUTE_PGM_RSRC2:TGID_Z_EN: 0
; COMPUTE_PGM_RSRC2:TIDIG_COMP_CNT: 0
	.section	.text._ZN9rocsparseL22bsrxmvn_general_kernelILj64ELj8EiliaaiEEv20rocsparse_direction_NS_24const_host_device_scalarIT1_EET3_PKS5_PKT2_SA_S7_PKT4_S5_PKT5_S4_PT6_21rocsparse_index_base_b,"axG",@progbits,_ZN9rocsparseL22bsrxmvn_general_kernelILj64ELj8EiliaaiEEv20rocsparse_direction_NS_24const_host_device_scalarIT1_EET3_PKS5_PKT2_SA_S7_PKT4_S5_PKT5_S4_PT6_21rocsparse_index_base_b,comdat
	.globl	_ZN9rocsparseL22bsrxmvn_general_kernelILj64ELj8EiliaaiEEv20rocsparse_direction_NS_24const_host_device_scalarIT1_EET3_PKS5_PKT2_SA_S7_PKT4_S5_PKT5_S4_PT6_21rocsparse_index_base_b ; -- Begin function _ZN9rocsparseL22bsrxmvn_general_kernelILj64ELj8EiliaaiEEv20rocsparse_direction_NS_24const_host_device_scalarIT1_EET3_PKS5_PKT2_SA_S7_PKT4_S5_PKT5_S4_PT6_21rocsparse_index_base_b
	.p2align	8
	.type	_ZN9rocsparseL22bsrxmvn_general_kernelILj64ELj8EiliaaiEEv20rocsparse_direction_NS_24const_host_device_scalarIT1_EET3_PKS5_PKT2_SA_S7_PKT4_S5_PKT5_S4_PT6_21rocsparse_index_base_b,@function
_ZN9rocsparseL22bsrxmvn_general_kernelILj64ELj8EiliaaiEEv20rocsparse_direction_NS_24const_host_device_scalarIT1_EET3_PKS5_PKT2_SA_S7_PKT4_S5_PKT5_S4_PT6_21rocsparse_index_base_b: ; @_ZN9rocsparseL22bsrxmvn_general_kernelILj64ELj8EiliaaiEEv20rocsparse_direction_NS_24const_host_device_scalarIT1_EET3_PKS5_PKT2_SA_S7_PKT4_S5_PKT5_S4_PT6_21rocsparse_index_base_b
; %bb.0:
	s_clause 0x1
	s_load_b64 s[2:3], s[0:1], 0x60
	s_load_b64 s[6:7], s[0:1], 0x8
	s_mov_b32 s8, -1
                                        ; implicit-def: $sgpr24
	s_wait_kmcnt 0x0
	s_bitcmp1_b32 s3, 0
	s_cselect_b32 s3, -1, 0
	s_delay_alu instid0(SALU_CYCLE_1) | instskip(NEXT) | instid1(SALU_CYCLE_1)
	s_xor_b32 s3, s3, -1
	s_and_b32 vcc_lo, exec_lo, s3
	s_cbranch_vccnz .LBB39_4
; %bb.1:
	s_load_b64 s[4:5], s[0:1], 0x50
	s_and_not1_b32 vcc_lo, exec_lo, s8
	s_cbranch_vccz .LBB39_5
.LBB39_2:
	s_and_b32 vcc_lo, exec_lo, s3
	s_cbranch_vccz .LBB39_6
.LBB39_3:
	s_wait_kmcnt 0x0
	s_load_b32 s25, s[4:5], 0x0
	s_cbranch_execz .LBB39_7
	s_branch .LBB39_8
.LBB39_4:
	s_load_b32 s24, s[6:7], 0x0
	s_load_b64 s[4:5], s[0:1], 0x50
	s_cbranch_execnz .LBB39_2
.LBB39_5:
	s_wait_kmcnt 0x0
	s_mov_b32 s24, s6
	s_and_b32 vcc_lo, exec_lo, s3
	s_cbranch_vccnz .LBB39_3
.LBB39_6:
                                        ; implicit-def: $sgpr25
.LBB39_7:
	s_wait_kmcnt 0x0
	s_mov_b32 s25, s4
.LBB39_8:
	s_wait_kmcnt 0x0
	s_cmp_lg_u32 s24, 0
	s_cselect_b32 s3, -1, 0
	s_cmp_lg_u32 s25, 1
	s_cselect_b32 s4, -1, 0
	s_delay_alu instid0(SALU_CYCLE_1) | instskip(NEXT) | instid1(SALU_CYCLE_1)
	s_or_b32 s3, s3, s4
	s_and_not1_b32 vcc_lo, exec_lo, s3
	s_cbranch_vccnz .LBB39_31
; %bb.9:
	s_load_b64 s[4:5], s[0:1], 0x18
	s_wait_kmcnt 0x0
	s_cmp_eq_u64 s[4:5], 0
	s_cbranch_scc1 .LBB39_11
; %bb.10:
	s_mov_b32 s6, ttmp9
	s_ashr_i32 s7, ttmp9, 31
	s_delay_alu instid0(SALU_CYCLE_1) | instskip(NEXT) | instid1(SALU_CYCLE_1)
	s_lshl_b64 s[6:7], s[6:7], 2
	s_add_nc_u64 s[4:5], s[4:5], s[6:7]
	s_load_b32 s3, s[4:5], 0x0
	s_wait_kmcnt 0x0
	s_sub_co_i32 s20, s3, s2
	s_branch .LBB39_12
.LBB39_11:
	s_mov_b32 s20, ttmp9
.LBB39_12:
	s_load_b32 s12, s[0:1], 0x40
	v_lshrrev_b32_e32 v1, 3, v0
	s_mov_b32 s3, exec_lo
	s_wait_kmcnt 0x0
	s_delay_alu instid0(VALU_DEP_1)
	v_cmpx_gt_i32_e64 s12, v1
	s_cbranch_execz .LBB39_31
; %bb.13:
	s_clause 0x2
	s_load_b256 s[4:11], s[0:1], 0x20
	s_load_b64 s[14:15], s[0:1], 0x58
	s_load_b64 s[16:17], s[0:1], 0x48
	s_ashr_i32 s21, s20, 31
	v_dual_mov_b32 v4, 0 :: v_dual_and_b32 v3, 7, v0
	v_mbcnt_lo_u32_b32 v0, -1, 0
	s_load_b32 s28, s[0:1], 0x0
	s_lshl_b64 s[0:1], s[20:21], 3
	s_mov_b32 s3, 0
	v_mul_lo_u32 v11, s12, v1
	v_xor_b32_e32 v2, 4, v0
	v_xor_b32_e32 v5, 2, v0
	;; [unrolled: 1-line block ×3, first 2 shown]
	v_mul_lo_u32 v12, s12, v3
	s_mov_b32 s13, s3
	v_cmp_gt_i32_e32 vcc_lo, 32, v2
	s_wait_kmcnt 0x0
	s_add_nc_u64 s[18:19], s[4:5], s[0:1]
	s_add_nc_u64 s[0:1], s[6:7], s[0:1]
	s_cmp_eq_u64 s[6:7], 0
	s_add_nc_u64 s[6:7], s[18:19], 8
	v_cndmask_b32_e32 v2, v0, v2, vcc_lo
	s_cselect_b32 s1, s7, s1
	s_cselect_b32 s0, s6, s0
	s_load_b64 s[22:23], s[18:19], 0x0
	s_load_b64 s[26:27], s[0:1], 0x0
	v_cmp_gt_i32_e32 vcc_lo, 32, v5
	s_cmp_lg_u32 s28, 0
	v_cmp_gt_u32_e64 s0, s12, v3
	v_cmp_eq_u32_e64 s1, 7, v3
	s_mul_u64 s[4:5], s[12:13], s[12:13]
	s_wait_alu 0xfffd
	v_cndmask_b32_e32 v5, v0, v5, vcc_lo
	v_cmp_gt_i32_e32 vcc_lo, 32, v6
	s_cselect_b32 s13, -1, 0
	s_cmp_lg_u32 s25, 0
	s_mul_i32 s28, s20, s12
	v_lshlrev_b32_e32 v14, 2, v5
	s_wait_alu 0xfffd
	v_cndmask_b32_e32 v0, v0, v6, vcc_lo
	s_delay_alu instid0(VALU_DEP_1)
	v_lshlrev_b32_e32 v15, 2, v0
	v_lshlrev_b32_e32 v13, 2, v2
	s_wait_kmcnt 0x0
	s_sub_nc_u64 s[6:7], s[22:23], s[2:3]
	s_sub_nc_u64 s[18:19], s[26:27], s[2:3]
	v_cmp_lt_i64_e64 s26, s[22:23], s[26:27]
	s_cselect_b32 s27, -1, 0
	s_mul_u64 s[20:21], s[6:7], s[4:5]
	s_lshl_b32 s29, s12, 3
	s_branch .LBB39_15
.LBB39_14:                              ;   in Loop: Header=BB39_15 Depth=1
	s_wait_alu 0xfffe
	s_or_b32 exec_lo, exec_lo, s22
	v_add_nc_u32_e32 v1, 8, v1
	v_add_nc_u32_e32 v11, s29, v11
	s_delay_alu instid0(VALU_DEP_2) | instskip(SKIP_1) | instid1(SALU_CYCLE_1)
	v_cmp_le_i32_e32 vcc_lo, s12, v1
	s_or_b32 s3, vcc_lo, s3
	s_and_not1_b32 exec_lo, exec_lo, s3
	s_cbranch_execz .LBB39_31
.LBB39_15:                              ; =>This Loop Header: Depth=1
                                        ;     Child Loop BB39_19 Depth 2
                                        ;       Child Loop BB39_22 Depth 3
	v_mov_b32_e32 v0, 0
	s_and_not1_b32 vcc_lo, exec_lo, s26
	s_wait_alu 0xfffe
	s_cbranch_vccnz .LBB39_26
; %bb.16:                               ;   in Loop: Header=BB39_15 Depth=1
	v_ashrrev_i32_e32 v0, 31, v11
	v_add_co_u32 v16, vcc_lo, s20, v11
	s_wait_dscnt 0x0
	v_ashrrev_i32_e32 v2, 31, v1
	s_mov_b64 s[22:23], s[6:7]
	s_wait_alu 0xfffd
	v_add_co_ci_u32_e64 v17, null, s21, v0, vcc_lo
	v_mov_b32_e32 v0, 0
	s_branch .LBB39_19
.LBB39_17:                              ;   in Loop: Header=BB39_19 Depth=2
	s_or_b32 exec_lo, exec_lo, s31
.LBB39_18:                              ;   in Loop: Header=BB39_19 Depth=2
	s_delay_alu instid0(SALU_CYCLE_1)
	s_or_b32 exec_lo, exec_lo, s30
	s_wait_alu 0xfffe
	s_add_nc_u64 s[22:23], s[22:23], 1
	v_add_co_u32 v16, vcc_lo, v16, s4
	s_wait_alu 0xfffe
	v_cmp_ge_i64_e64 s30, s[22:23], s[18:19]
	s_wait_alu 0xfffd
	v_add_co_ci_u32_e64 v17, null, s5, v17, vcc_lo
	s_and_b32 vcc_lo, exec_lo, s30
	s_wait_alu 0xfffe
	s_cbranch_vccnz .LBB39_26
.LBB39_19:                              ;   Parent Loop BB39_15 Depth=1
                                        ; =>  This Loop Header: Depth=2
                                        ;       Child Loop BB39_22 Depth 3
	s_and_saveexec_b32 s30, s0
	s_cbranch_execz .LBB39_18
; %bb.20:                               ;   in Loop: Header=BB39_19 Depth=2
	s_wait_alu 0xfffe
	s_lshl_b64 s[34:35], s[22:23], 2
	v_mad_co_u64_u32 v[5:6], null, s4, s22, v[1:2]
	s_wait_alu 0xfffe
	s_add_nc_u64 s[34:35], s[8:9], s[34:35]
	s_mul_i32 s33, s5, s22
	s_load_b32 s31, s[34:35], 0x0
	s_mul_i32 s34, s4, s23
	v_mov_b32_e32 v8, v4
	v_dual_mov_b32 v18, v12 :: v_dual_mov_b32 v7, v3
	s_wait_alu 0xfffe
	v_add3_u32 v6, s34, s33, v6
	s_wait_kmcnt 0x0
	s_sub_co_i32 s31, s31, s2
	s_delay_alu instid0(SALU_CYCLE_1)
	s_mul_i32 s33, s31, s12
	s_mov_b32 s31, 0
	s_branch .LBB39_22
.LBB39_21:                              ;   in Loop: Header=BB39_22 Depth=3
	v_add_nc_u32_e32 v19, s33, v7
	v_add_co_u32 v9, vcc_lo, s10, v9
	s_wait_alu 0xfffd
	v_add_co_ci_u32_e64 v10, null, s11, v10, vcc_lo
	s_delay_alu instid0(VALU_DEP_3) | instskip(SKIP_3) | instid1(VALU_DEP_3)
	v_ashrrev_i32_e32 v20, 31, v19
	v_add_co_u32 v19, vcc_lo, s16, v19
	v_add_nc_u32_e32 v18, s29, v18
	s_wait_alu 0xfffd
	v_add_co_ci_u32_e64 v20, null, s17, v20, vcc_lo
	v_add_co_u32 v7, vcc_lo, v7, 8
	global_load_i8 v9, v[9:10], off
	global_load_i8 v10, v[19:20], off
	s_wait_alu 0xfffd
	v_add_co_ci_u32_e64 v8, null, 0, v8, vcc_lo
	v_cmp_le_i32_e32 vcc_lo, s12, v7
	s_or_b32 s31, vcc_lo, s31
	s_wait_loadcnt 0x0
	v_mad_i32_i24 v0, v10, v9, v0
	s_and_not1_b32 exec_lo, exec_lo, s31
	s_cbranch_execz .LBB39_17
.LBB39_22:                              ;   Parent Loop BB39_15 Depth=1
                                        ;     Parent Loop BB39_19 Depth=2
                                        ; =>    This Inner Loop Header: Depth=3
	s_and_b32 vcc_lo, exec_lo, s13
	s_wait_alu 0xfffe
	s_cbranch_vccz .LBB39_24
; %bb.23:                               ;   in Loop: Header=BB39_22 Depth=3
	v_ashrrev_i32_e32 v10, 31, v18
	v_add_co_u32 v9, vcc_lo, v5, v18
	s_wait_alu 0xfffd
	s_delay_alu instid0(VALU_DEP_2)
	v_add_co_ci_u32_e64 v10, null, v6, v10, vcc_lo
	s_cbranch_execnz .LBB39_21
	s_branch .LBB39_25
.LBB39_24:                              ;   in Loop: Header=BB39_22 Depth=3
                                        ; implicit-def: $vgpr9_vgpr10
.LBB39_25:                              ;   in Loop: Header=BB39_22 Depth=3
	v_add_co_u32 v9, vcc_lo, v16, v7
	s_wait_alu 0xfffd
	v_add_co_ci_u32_e64 v10, null, v17, v8, vcc_lo
	s_branch .LBB39_21
.LBB39_26:                              ;   in Loop: Header=BB39_15 Depth=1
	s_wait_dscnt 0x0
	ds_bpermute_b32 v2, v13, v0
	s_wait_dscnt 0x0
	v_add_nc_u32_e32 v0, v2, v0
	ds_bpermute_b32 v2, v14, v0
	s_wait_dscnt 0x0
	v_add_nc_u32_e32 v0, v2, v0
	ds_bpermute_b32 v2, v15, v0
	s_and_saveexec_b32 s22, s1
	s_cbranch_execz .LBB39_14
; %bb.27:                               ;   in Loop: Header=BB39_15 Depth=1
	s_wait_dscnt 0x0
	v_add_nc_u32_e32 v0, v2, v0
	v_add_nc_u32_e32 v5, s28, v1
	s_and_not1_b32 vcc_lo, exec_lo, s27
	s_delay_alu instid0(VALU_DEP_2) | instskip(NEXT) | instid1(VALU_DEP_2)
	v_mul_lo_u32 v0, v0, s24
	v_ashrrev_i32_e32 v6, 31, v5
	s_wait_alu 0xfffe
	s_cbranch_vccnz .LBB39_29
; %bb.28:                               ;   in Loop: Header=BB39_15 Depth=1
	s_delay_alu instid0(VALU_DEP_1) | instskip(NEXT) | instid1(VALU_DEP_1)
	v_lshlrev_b64_e32 v[7:8], 2, v[5:6]
	v_add_co_u32 v7, vcc_lo, s14, v7
	s_wait_alu 0xfffd
	s_delay_alu instid0(VALU_DEP_2)
	v_add_co_ci_u32_e64 v8, null, s15, v8, vcc_lo
	global_load_b32 v2, v[7:8], off
	s_wait_loadcnt 0x0
	v_mad_co_u64_u32 v[9:10], null, v2, s25, v[0:1]
	global_store_b32 v[7:8], v9, off
	s_cbranch_execnz .LBB39_14
	s_branch .LBB39_30
.LBB39_29:                              ;   in Loop: Header=BB39_15 Depth=1
.LBB39_30:                              ;   in Loop: Header=BB39_15 Depth=1
	s_delay_alu instid0(VALU_DEP_1) | instskip(NEXT) | instid1(VALU_DEP_1)
	v_lshlrev_b64_e32 v[5:6], 2, v[5:6]
	v_add_co_u32 v5, vcc_lo, s14, v5
	s_wait_alu 0xfffd
	s_delay_alu instid0(VALU_DEP_2)
	v_add_co_ci_u32_e64 v6, null, s15, v6, vcc_lo
	global_store_b32 v[5:6], v0, off
	s_branch .LBB39_14
.LBB39_31:
	s_endpgm
	.section	.rodata,"a",@progbits
	.p2align	6, 0x0
	.amdhsa_kernel _ZN9rocsparseL22bsrxmvn_general_kernelILj64ELj8EiliaaiEEv20rocsparse_direction_NS_24const_host_device_scalarIT1_EET3_PKS5_PKT2_SA_S7_PKT4_S5_PKT5_S4_PT6_21rocsparse_index_base_b
		.amdhsa_group_segment_fixed_size 0
		.amdhsa_private_segment_fixed_size 0
		.amdhsa_kernarg_size 104
		.amdhsa_user_sgpr_count 2
		.amdhsa_user_sgpr_dispatch_ptr 0
		.amdhsa_user_sgpr_queue_ptr 0
		.amdhsa_user_sgpr_kernarg_segment_ptr 1
		.amdhsa_user_sgpr_dispatch_id 0
		.amdhsa_user_sgpr_private_segment_size 0
		.amdhsa_wavefront_size32 1
		.amdhsa_uses_dynamic_stack 0
		.amdhsa_enable_private_segment 0
		.amdhsa_system_sgpr_workgroup_id_x 1
		.amdhsa_system_sgpr_workgroup_id_y 0
		.amdhsa_system_sgpr_workgroup_id_z 0
		.amdhsa_system_sgpr_workgroup_info 0
		.amdhsa_system_vgpr_workitem_id 0
		.amdhsa_next_free_vgpr 21
		.amdhsa_next_free_sgpr 36
		.amdhsa_reserve_vcc 1
		.amdhsa_float_round_mode_32 0
		.amdhsa_float_round_mode_16_64 0
		.amdhsa_float_denorm_mode_32 3
		.amdhsa_float_denorm_mode_16_64 3
		.amdhsa_fp16_overflow 0
		.amdhsa_workgroup_processor_mode 1
		.amdhsa_memory_ordered 1
		.amdhsa_forward_progress 1
		.amdhsa_inst_pref_size 10
		.amdhsa_round_robin_scheduling 0
		.amdhsa_exception_fp_ieee_invalid_op 0
		.amdhsa_exception_fp_denorm_src 0
		.amdhsa_exception_fp_ieee_div_zero 0
		.amdhsa_exception_fp_ieee_overflow 0
		.amdhsa_exception_fp_ieee_underflow 0
		.amdhsa_exception_fp_ieee_inexact 0
		.amdhsa_exception_int_div_zero 0
	.end_amdhsa_kernel
	.section	.text._ZN9rocsparseL22bsrxmvn_general_kernelILj64ELj8EiliaaiEEv20rocsparse_direction_NS_24const_host_device_scalarIT1_EET3_PKS5_PKT2_SA_S7_PKT4_S5_PKT5_S4_PT6_21rocsparse_index_base_b,"axG",@progbits,_ZN9rocsparseL22bsrxmvn_general_kernelILj64ELj8EiliaaiEEv20rocsparse_direction_NS_24const_host_device_scalarIT1_EET3_PKS5_PKT2_SA_S7_PKT4_S5_PKT5_S4_PT6_21rocsparse_index_base_b,comdat
.Lfunc_end39:
	.size	_ZN9rocsparseL22bsrxmvn_general_kernelILj64ELj8EiliaaiEEv20rocsparse_direction_NS_24const_host_device_scalarIT1_EET3_PKS5_PKT2_SA_S7_PKT4_S5_PKT5_S4_PT6_21rocsparse_index_base_b, .Lfunc_end39-_ZN9rocsparseL22bsrxmvn_general_kernelILj64ELj8EiliaaiEEv20rocsparse_direction_NS_24const_host_device_scalarIT1_EET3_PKS5_PKT2_SA_S7_PKT4_S5_PKT5_S4_PT6_21rocsparse_index_base_b
                                        ; -- End function
	.set _ZN9rocsparseL22bsrxmvn_general_kernelILj64ELj8EiliaaiEEv20rocsparse_direction_NS_24const_host_device_scalarIT1_EET3_PKS5_PKT2_SA_S7_PKT4_S5_PKT5_S4_PT6_21rocsparse_index_base_b.num_vgpr, 21
	.set _ZN9rocsparseL22bsrxmvn_general_kernelILj64ELj8EiliaaiEEv20rocsparse_direction_NS_24const_host_device_scalarIT1_EET3_PKS5_PKT2_SA_S7_PKT4_S5_PKT5_S4_PT6_21rocsparse_index_base_b.num_agpr, 0
	.set _ZN9rocsparseL22bsrxmvn_general_kernelILj64ELj8EiliaaiEEv20rocsparse_direction_NS_24const_host_device_scalarIT1_EET3_PKS5_PKT2_SA_S7_PKT4_S5_PKT5_S4_PT6_21rocsparse_index_base_b.numbered_sgpr, 36
	.set _ZN9rocsparseL22bsrxmvn_general_kernelILj64ELj8EiliaaiEEv20rocsparse_direction_NS_24const_host_device_scalarIT1_EET3_PKS5_PKT2_SA_S7_PKT4_S5_PKT5_S4_PT6_21rocsparse_index_base_b.num_named_barrier, 0
	.set _ZN9rocsparseL22bsrxmvn_general_kernelILj64ELj8EiliaaiEEv20rocsparse_direction_NS_24const_host_device_scalarIT1_EET3_PKS5_PKT2_SA_S7_PKT4_S5_PKT5_S4_PT6_21rocsparse_index_base_b.private_seg_size, 0
	.set _ZN9rocsparseL22bsrxmvn_general_kernelILj64ELj8EiliaaiEEv20rocsparse_direction_NS_24const_host_device_scalarIT1_EET3_PKS5_PKT2_SA_S7_PKT4_S5_PKT5_S4_PT6_21rocsparse_index_base_b.uses_vcc, 1
	.set _ZN9rocsparseL22bsrxmvn_general_kernelILj64ELj8EiliaaiEEv20rocsparse_direction_NS_24const_host_device_scalarIT1_EET3_PKS5_PKT2_SA_S7_PKT4_S5_PKT5_S4_PT6_21rocsparse_index_base_b.uses_flat_scratch, 0
	.set _ZN9rocsparseL22bsrxmvn_general_kernelILj64ELj8EiliaaiEEv20rocsparse_direction_NS_24const_host_device_scalarIT1_EET3_PKS5_PKT2_SA_S7_PKT4_S5_PKT5_S4_PT6_21rocsparse_index_base_b.has_dyn_sized_stack, 0
	.set _ZN9rocsparseL22bsrxmvn_general_kernelILj64ELj8EiliaaiEEv20rocsparse_direction_NS_24const_host_device_scalarIT1_EET3_PKS5_PKT2_SA_S7_PKT4_S5_PKT5_S4_PT6_21rocsparse_index_base_b.has_recursion, 0
	.set _ZN9rocsparseL22bsrxmvn_general_kernelILj64ELj8EiliaaiEEv20rocsparse_direction_NS_24const_host_device_scalarIT1_EET3_PKS5_PKT2_SA_S7_PKT4_S5_PKT5_S4_PT6_21rocsparse_index_base_b.has_indirect_call, 0
	.section	.AMDGPU.csdata,"",@progbits
; Kernel info:
; codeLenInByte = 1212
; TotalNumSgprs: 38
; NumVgprs: 21
; ScratchSize: 0
; MemoryBound: 0
; FloatMode: 240
; IeeeMode: 1
; LDSByteSize: 0 bytes/workgroup (compile time only)
; SGPRBlocks: 0
; VGPRBlocks: 2
; NumSGPRsForWavesPerEU: 38
; NumVGPRsForWavesPerEU: 21
; Occupancy: 16
; WaveLimiterHint : 1
; COMPUTE_PGM_RSRC2:SCRATCH_EN: 0
; COMPUTE_PGM_RSRC2:USER_SGPR: 2
; COMPUTE_PGM_RSRC2:TRAP_HANDLER: 0
; COMPUTE_PGM_RSRC2:TGID_X_EN: 1
; COMPUTE_PGM_RSRC2:TGID_Y_EN: 0
; COMPUTE_PGM_RSRC2:TGID_Z_EN: 0
; COMPUTE_PGM_RSRC2:TIDIG_COMP_CNT: 0
	.section	.text._ZN9rocsparseL22bsrxmvn_general_kernelILj256ELj16EiliaaiEEv20rocsparse_direction_NS_24const_host_device_scalarIT1_EET3_PKS5_PKT2_SA_S7_PKT4_S5_PKT5_S4_PT6_21rocsparse_index_base_b,"axG",@progbits,_ZN9rocsparseL22bsrxmvn_general_kernelILj256ELj16EiliaaiEEv20rocsparse_direction_NS_24const_host_device_scalarIT1_EET3_PKS5_PKT2_SA_S7_PKT4_S5_PKT5_S4_PT6_21rocsparse_index_base_b,comdat
	.globl	_ZN9rocsparseL22bsrxmvn_general_kernelILj256ELj16EiliaaiEEv20rocsparse_direction_NS_24const_host_device_scalarIT1_EET3_PKS5_PKT2_SA_S7_PKT4_S5_PKT5_S4_PT6_21rocsparse_index_base_b ; -- Begin function _ZN9rocsparseL22bsrxmvn_general_kernelILj256ELj16EiliaaiEEv20rocsparse_direction_NS_24const_host_device_scalarIT1_EET3_PKS5_PKT2_SA_S7_PKT4_S5_PKT5_S4_PT6_21rocsparse_index_base_b
	.p2align	8
	.type	_ZN9rocsparseL22bsrxmvn_general_kernelILj256ELj16EiliaaiEEv20rocsparse_direction_NS_24const_host_device_scalarIT1_EET3_PKS5_PKT2_SA_S7_PKT4_S5_PKT5_S4_PT6_21rocsparse_index_base_b,@function
_ZN9rocsparseL22bsrxmvn_general_kernelILj256ELj16EiliaaiEEv20rocsparse_direction_NS_24const_host_device_scalarIT1_EET3_PKS5_PKT2_SA_S7_PKT4_S5_PKT5_S4_PT6_21rocsparse_index_base_b: ; @_ZN9rocsparseL22bsrxmvn_general_kernelILj256ELj16EiliaaiEEv20rocsparse_direction_NS_24const_host_device_scalarIT1_EET3_PKS5_PKT2_SA_S7_PKT4_S5_PKT5_S4_PT6_21rocsparse_index_base_b
; %bb.0:
	s_clause 0x1
	s_load_b64 s[2:3], s[0:1], 0x60
	s_load_b64 s[6:7], s[0:1], 0x8
	s_mov_b32 s8, -1
                                        ; implicit-def: $sgpr24
	s_wait_kmcnt 0x0
	s_bitcmp1_b32 s3, 0
	s_cselect_b32 s3, -1, 0
	s_delay_alu instid0(SALU_CYCLE_1) | instskip(NEXT) | instid1(SALU_CYCLE_1)
	s_xor_b32 s3, s3, -1
	s_and_b32 vcc_lo, exec_lo, s3
	s_cbranch_vccnz .LBB40_4
; %bb.1:
	s_load_b64 s[4:5], s[0:1], 0x50
	s_and_not1_b32 vcc_lo, exec_lo, s8
	s_cbranch_vccz .LBB40_5
.LBB40_2:
	s_and_b32 vcc_lo, exec_lo, s3
	s_cbranch_vccz .LBB40_6
.LBB40_3:
	s_wait_kmcnt 0x0
	s_load_b32 s25, s[4:5], 0x0
	s_cbranch_execz .LBB40_7
	s_branch .LBB40_8
.LBB40_4:
	s_load_b32 s24, s[6:7], 0x0
	s_load_b64 s[4:5], s[0:1], 0x50
	s_cbranch_execnz .LBB40_2
.LBB40_5:
	s_wait_kmcnt 0x0
	s_mov_b32 s24, s6
	s_and_b32 vcc_lo, exec_lo, s3
	s_cbranch_vccnz .LBB40_3
.LBB40_6:
                                        ; implicit-def: $sgpr25
.LBB40_7:
	s_wait_kmcnt 0x0
	s_mov_b32 s25, s4
.LBB40_8:
	s_wait_kmcnt 0x0
	s_cmp_lg_u32 s24, 0
	s_cselect_b32 s3, -1, 0
	s_cmp_lg_u32 s25, 1
	s_cselect_b32 s4, -1, 0
	s_delay_alu instid0(SALU_CYCLE_1) | instskip(NEXT) | instid1(SALU_CYCLE_1)
	s_or_b32 s3, s3, s4
	s_and_not1_b32 vcc_lo, exec_lo, s3
	s_cbranch_vccnz .LBB40_31
; %bb.9:
	s_load_b64 s[4:5], s[0:1], 0x18
	s_wait_kmcnt 0x0
	s_cmp_eq_u64 s[4:5], 0
	s_cbranch_scc1 .LBB40_11
; %bb.10:
	s_mov_b32 s6, ttmp9
	s_ashr_i32 s7, ttmp9, 31
	s_delay_alu instid0(SALU_CYCLE_1) | instskip(NEXT) | instid1(SALU_CYCLE_1)
	s_lshl_b64 s[6:7], s[6:7], 2
	s_add_nc_u64 s[4:5], s[4:5], s[6:7]
	s_load_b32 s3, s[4:5], 0x0
	s_wait_kmcnt 0x0
	s_sub_co_i32 s20, s3, s2
	s_branch .LBB40_12
.LBB40_11:
	s_mov_b32 s20, ttmp9
.LBB40_12:
	s_load_b32 s12, s[0:1], 0x40
	v_lshrrev_b32_e32 v1, 4, v0
	s_mov_b32 s3, exec_lo
	s_wait_kmcnt 0x0
	s_delay_alu instid0(VALU_DEP_1)
	v_cmpx_gt_i32_e64 s12, v1
	s_cbranch_execz .LBB40_31
; %bb.13:
	s_clause 0x2
	s_load_b256 s[4:11], s[0:1], 0x20
	s_load_b64 s[14:15], s[0:1], 0x58
	s_load_b64 s[16:17], s[0:1], 0x48
	v_dual_mov_b32 v4, 0 :: v_dual_and_b32 v3, 15, v0
	v_mbcnt_lo_u32_b32 v0, -1, 0
	s_ashr_i32 s21, s20, 31
	s_load_b32 s28, s[0:1], 0x0
	s_lshl_b64 s[22:23], s[20:21], 3
	s_mov_b32 s3, 0
	v_xor_b32_e32 v2, 8, v0
	v_xor_b32_e32 v5, 4, v0
	;; [unrolled: 1-line block ×4, first 2 shown]
	v_mul_lo_u32 v11, s12, v1
	v_cmp_gt_i32_e32 vcc_lo, 32, v2
	v_mul_lo_u32 v12, s12, v3
	s_mov_b32 s13, s3
	v_cmp_gt_u32_e64 s0, s12, v3
	v_cmp_eq_u32_e64 s1, 15, v3
	s_wait_kmcnt 0x0
	s_add_nc_u64 s[4:5], s[4:5], s[22:23]
	s_add_nc_u64 s[22:23], s[6:7], s[22:23]
	s_cmp_eq_u64 s[6:7], 0
	s_add_nc_u64 s[6:7], s[4:5], 8
	v_cndmask_b32_e32 v2, v0, v2, vcc_lo
	s_cselect_b32 s7, s7, s23
	s_cselect_b32 s6, s6, s22
	s_load_b64 s[22:23], s[4:5], 0x0
	s_load_b64 s[26:27], s[6:7], 0x0
	v_cmp_gt_i32_e32 vcc_lo, 32, v5
	s_cmp_lg_u32 s28, 0
	s_mul_u64 s[18:19], s[12:13], s[12:13]
	s_cselect_b32 s13, -1, 0
	v_lshlrev_b32_e32 v13, 2, v2
	s_wait_alu 0xfffd
	v_cndmask_b32_e32 v5, v0, v5, vcc_lo
	v_cmp_gt_i32_e32 vcc_lo, 32, v6
	s_cmp_lg_u32 s25, 0
	s_mul_i32 s28, s20, s12
	s_wait_alu 0xfffd
	v_cndmask_b32_e32 v6, v0, v6, vcc_lo
	v_cmp_gt_i32_e32 vcc_lo, 32, v7
	s_wait_alu 0xfffd
	s_delay_alu instid0(VALU_DEP_2)
	v_dual_cndmask_b32 v0, v0, v7 :: v_dual_lshlrev_b32 v15, 2, v6
	s_wait_kmcnt 0x0
	s_sub_nc_u64 s[4:5], s[22:23], s[2:3]
	s_sub_nc_u64 s[6:7], s[26:27], s[2:3]
	v_cmp_lt_i64_e64 s26, s[22:23], s[26:27]
	s_cselect_b32 s27, -1, 0
	v_lshlrev_b32_e32 v16, 2, v0
	v_lshlrev_b32_e32 v14, 2, v5
	s_mul_u64 s[20:21], s[4:5], s[18:19]
	s_lshl_b32 s29, s12, 4
	s_branch .LBB40_15
.LBB40_14:                              ;   in Loop: Header=BB40_15 Depth=1
	s_wait_alu 0xfffe
	s_or_b32 exec_lo, exec_lo, s22
	v_add_nc_u32_e32 v1, 16, v1
	v_add_nc_u32_e32 v11, s29, v11
	s_delay_alu instid0(VALU_DEP_2) | instskip(SKIP_1) | instid1(SALU_CYCLE_1)
	v_cmp_le_i32_e32 vcc_lo, s12, v1
	s_or_b32 s3, vcc_lo, s3
	s_and_not1_b32 exec_lo, exec_lo, s3
	s_cbranch_execz .LBB40_31
.LBB40_15:                              ; =>This Loop Header: Depth=1
                                        ;     Child Loop BB40_19 Depth 2
                                        ;       Child Loop BB40_22 Depth 3
	v_mov_b32_e32 v0, 0
	s_and_not1_b32 vcc_lo, exec_lo, s26
	s_wait_alu 0xfffe
	s_cbranch_vccnz .LBB40_26
; %bb.16:                               ;   in Loop: Header=BB40_15 Depth=1
	v_ashrrev_i32_e32 v0, 31, v11
	v_add_co_u32 v17, vcc_lo, s20, v11
	s_wait_dscnt 0x0
	v_ashrrev_i32_e32 v2, 31, v1
	s_mov_b64 s[22:23], s[4:5]
	s_wait_alu 0xfffd
	v_add_co_ci_u32_e64 v18, null, s21, v0, vcc_lo
	v_mov_b32_e32 v0, 0
	s_branch .LBB40_19
.LBB40_17:                              ;   in Loop: Header=BB40_19 Depth=2
	s_or_b32 exec_lo, exec_lo, s31
.LBB40_18:                              ;   in Loop: Header=BB40_19 Depth=2
	s_delay_alu instid0(SALU_CYCLE_1)
	s_or_b32 exec_lo, exec_lo, s30
	s_wait_alu 0xfffe
	s_add_nc_u64 s[22:23], s[22:23], 1
	v_add_co_u32 v17, vcc_lo, v17, s18
	s_wait_alu 0xfffe
	v_cmp_ge_i64_e64 s30, s[22:23], s[6:7]
	s_wait_alu 0xfffd
	v_add_co_ci_u32_e64 v18, null, s19, v18, vcc_lo
	s_and_b32 vcc_lo, exec_lo, s30
	s_wait_alu 0xfffe
	s_cbranch_vccnz .LBB40_26
.LBB40_19:                              ;   Parent Loop BB40_15 Depth=1
                                        ; =>  This Loop Header: Depth=2
                                        ;       Child Loop BB40_22 Depth 3
	s_and_saveexec_b32 s30, s0
	s_cbranch_execz .LBB40_18
; %bb.20:                               ;   in Loop: Header=BB40_19 Depth=2
	s_wait_alu 0xfffe
	s_lshl_b64 s[34:35], s[22:23], 2
	v_mad_co_u64_u32 v[5:6], null, s18, s22, v[1:2]
	s_wait_alu 0xfffe
	s_add_nc_u64 s[34:35], s[8:9], s[34:35]
	s_mul_i32 s33, s19, s22
	s_load_b32 s31, s[34:35], 0x0
	s_mul_i32 s34, s18, s23
	v_dual_mov_b32 v19, v12 :: v_dual_mov_b32 v8, v4
	v_mov_b32_e32 v7, v3
	s_wait_alu 0xfffe
	v_add3_u32 v6, s34, s33, v6
	s_wait_kmcnt 0x0
	s_sub_co_i32 s31, s31, s2
	s_delay_alu instid0(SALU_CYCLE_1)
	s_mul_i32 s33, s31, s12
	s_mov_b32 s31, 0
	s_branch .LBB40_22
.LBB40_21:                              ;   in Loop: Header=BB40_22 Depth=3
	v_add_nc_u32_e32 v20, s33, v7
	v_add_co_u32 v9, vcc_lo, s10, v9
	s_wait_alu 0xfffd
	v_add_co_ci_u32_e64 v10, null, s11, v10, vcc_lo
	s_delay_alu instid0(VALU_DEP_3) | instskip(SKIP_3) | instid1(VALU_DEP_3)
	v_ashrrev_i32_e32 v21, 31, v20
	v_add_co_u32 v20, vcc_lo, s16, v20
	v_add_nc_u32_e32 v19, s29, v19
	s_wait_alu 0xfffd
	v_add_co_ci_u32_e64 v21, null, s17, v21, vcc_lo
	v_add_co_u32 v7, vcc_lo, v7, 16
	global_load_i8 v9, v[9:10], off
	global_load_i8 v10, v[20:21], off
	s_wait_alu 0xfffd
	v_add_co_ci_u32_e64 v8, null, 0, v8, vcc_lo
	v_cmp_le_i32_e32 vcc_lo, s12, v7
	s_or_b32 s31, vcc_lo, s31
	s_wait_loadcnt 0x0
	v_mad_i32_i24 v0, v10, v9, v0
	s_and_not1_b32 exec_lo, exec_lo, s31
	s_cbranch_execz .LBB40_17
.LBB40_22:                              ;   Parent Loop BB40_15 Depth=1
                                        ;     Parent Loop BB40_19 Depth=2
                                        ; =>    This Inner Loop Header: Depth=3
	s_and_b32 vcc_lo, exec_lo, s13
	s_wait_alu 0xfffe
	s_cbranch_vccz .LBB40_24
; %bb.23:                               ;   in Loop: Header=BB40_22 Depth=3
	v_ashrrev_i32_e32 v10, 31, v19
	v_add_co_u32 v9, vcc_lo, v5, v19
	s_wait_alu 0xfffd
	s_delay_alu instid0(VALU_DEP_2)
	v_add_co_ci_u32_e64 v10, null, v6, v10, vcc_lo
	s_cbranch_execnz .LBB40_21
	s_branch .LBB40_25
.LBB40_24:                              ;   in Loop: Header=BB40_22 Depth=3
                                        ; implicit-def: $vgpr9_vgpr10
.LBB40_25:                              ;   in Loop: Header=BB40_22 Depth=3
	v_add_co_u32 v9, vcc_lo, v17, v7
	s_wait_alu 0xfffd
	v_add_co_ci_u32_e64 v10, null, v18, v8, vcc_lo
	s_branch .LBB40_21
.LBB40_26:                              ;   in Loop: Header=BB40_15 Depth=1
	s_wait_dscnt 0x0
	ds_bpermute_b32 v2, v13, v0
	s_wait_dscnt 0x0
	v_add_nc_u32_e32 v0, v2, v0
	ds_bpermute_b32 v2, v14, v0
	s_wait_dscnt 0x0
	v_add_nc_u32_e32 v0, v2, v0
	;; [unrolled: 3-line block ×3, first 2 shown]
	ds_bpermute_b32 v2, v16, v0
	s_and_saveexec_b32 s22, s1
	s_cbranch_execz .LBB40_14
; %bb.27:                               ;   in Loop: Header=BB40_15 Depth=1
	s_wait_dscnt 0x0
	v_add_nc_u32_e32 v0, v2, v0
	v_add_nc_u32_e32 v5, s28, v1
	s_and_not1_b32 vcc_lo, exec_lo, s27
	s_delay_alu instid0(VALU_DEP_2) | instskip(NEXT) | instid1(VALU_DEP_2)
	v_mul_lo_u32 v0, v0, s24
	v_ashrrev_i32_e32 v6, 31, v5
	s_wait_alu 0xfffe
	s_cbranch_vccnz .LBB40_29
; %bb.28:                               ;   in Loop: Header=BB40_15 Depth=1
	s_delay_alu instid0(VALU_DEP_1) | instskip(NEXT) | instid1(VALU_DEP_1)
	v_lshlrev_b64_e32 v[7:8], 2, v[5:6]
	v_add_co_u32 v7, vcc_lo, s14, v7
	s_wait_alu 0xfffd
	s_delay_alu instid0(VALU_DEP_2)
	v_add_co_ci_u32_e64 v8, null, s15, v8, vcc_lo
	global_load_b32 v2, v[7:8], off
	s_wait_loadcnt 0x0
	v_mad_co_u64_u32 v[9:10], null, v2, s25, v[0:1]
	global_store_b32 v[7:8], v9, off
	s_cbranch_execnz .LBB40_14
	s_branch .LBB40_30
.LBB40_29:                              ;   in Loop: Header=BB40_15 Depth=1
.LBB40_30:                              ;   in Loop: Header=BB40_15 Depth=1
	s_delay_alu instid0(VALU_DEP_1) | instskip(NEXT) | instid1(VALU_DEP_1)
	v_lshlrev_b64_e32 v[5:6], 2, v[5:6]
	v_add_co_u32 v5, vcc_lo, s14, v5
	s_wait_alu 0xfffd
	s_delay_alu instid0(VALU_DEP_2)
	v_add_co_ci_u32_e64 v6, null, s15, v6, vcc_lo
	global_store_b32 v[5:6], v0, off
	s_branch .LBB40_14
.LBB40_31:
	s_endpgm
	.section	.rodata,"a",@progbits
	.p2align	6, 0x0
	.amdhsa_kernel _ZN9rocsparseL22bsrxmvn_general_kernelILj256ELj16EiliaaiEEv20rocsparse_direction_NS_24const_host_device_scalarIT1_EET3_PKS5_PKT2_SA_S7_PKT4_S5_PKT5_S4_PT6_21rocsparse_index_base_b
		.amdhsa_group_segment_fixed_size 0
		.amdhsa_private_segment_fixed_size 0
		.amdhsa_kernarg_size 104
		.amdhsa_user_sgpr_count 2
		.amdhsa_user_sgpr_dispatch_ptr 0
		.amdhsa_user_sgpr_queue_ptr 0
		.amdhsa_user_sgpr_kernarg_segment_ptr 1
		.amdhsa_user_sgpr_dispatch_id 0
		.amdhsa_user_sgpr_private_segment_size 0
		.amdhsa_wavefront_size32 1
		.amdhsa_uses_dynamic_stack 0
		.amdhsa_enable_private_segment 0
		.amdhsa_system_sgpr_workgroup_id_x 1
		.amdhsa_system_sgpr_workgroup_id_y 0
		.amdhsa_system_sgpr_workgroup_id_z 0
		.amdhsa_system_sgpr_workgroup_info 0
		.amdhsa_system_vgpr_workitem_id 0
		.amdhsa_next_free_vgpr 22
		.amdhsa_next_free_sgpr 36
		.amdhsa_reserve_vcc 1
		.amdhsa_float_round_mode_32 0
		.amdhsa_float_round_mode_16_64 0
		.amdhsa_float_denorm_mode_32 3
		.amdhsa_float_denorm_mode_16_64 3
		.amdhsa_fp16_overflow 0
		.amdhsa_workgroup_processor_mode 1
		.amdhsa_memory_ordered 1
		.amdhsa_forward_progress 1
		.amdhsa_inst_pref_size 10
		.amdhsa_round_robin_scheduling 0
		.amdhsa_exception_fp_ieee_invalid_op 0
		.amdhsa_exception_fp_denorm_src 0
		.amdhsa_exception_fp_ieee_div_zero 0
		.amdhsa_exception_fp_ieee_overflow 0
		.amdhsa_exception_fp_ieee_underflow 0
		.amdhsa_exception_fp_ieee_inexact 0
		.amdhsa_exception_int_div_zero 0
	.end_amdhsa_kernel
	.section	.text._ZN9rocsparseL22bsrxmvn_general_kernelILj256ELj16EiliaaiEEv20rocsparse_direction_NS_24const_host_device_scalarIT1_EET3_PKS5_PKT2_SA_S7_PKT4_S5_PKT5_S4_PT6_21rocsparse_index_base_b,"axG",@progbits,_ZN9rocsparseL22bsrxmvn_general_kernelILj256ELj16EiliaaiEEv20rocsparse_direction_NS_24const_host_device_scalarIT1_EET3_PKS5_PKT2_SA_S7_PKT4_S5_PKT5_S4_PT6_21rocsparse_index_base_b,comdat
.Lfunc_end40:
	.size	_ZN9rocsparseL22bsrxmvn_general_kernelILj256ELj16EiliaaiEEv20rocsparse_direction_NS_24const_host_device_scalarIT1_EET3_PKS5_PKT2_SA_S7_PKT4_S5_PKT5_S4_PT6_21rocsparse_index_base_b, .Lfunc_end40-_ZN9rocsparseL22bsrxmvn_general_kernelILj256ELj16EiliaaiEEv20rocsparse_direction_NS_24const_host_device_scalarIT1_EET3_PKS5_PKT2_SA_S7_PKT4_S5_PKT5_S4_PT6_21rocsparse_index_base_b
                                        ; -- End function
	.set _ZN9rocsparseL22bsrxmvn_general_kernelILj256ELj16EiliaaiEEv20rocsparse_direction_NS_24const_host_device_scalarIT1_EET3_PKS5_PKT2_SA_S7_PKT4_S5_PKT5_S4_PT6_21rocsparse_index_base_b.num_vgpr, 22
	.set _ZN9rocsparseL22bsrxmvn_general_kernelILj256ELj16EiliaaiEEv20rocsparse_direction_NS_24const_host_device_scalarIT1_EET3_PKS5_PKT2_SA_S7_PKT4_S5_PKT5_S4_PT6_21rocsparse_index_base_b.num_agpr, 0
	.set _ZN9rocsparseL22bsrxmvn_general_kernelILj256ELj16EiliaaiEEv20rocsparse_direction_NS_24const_host_device_scalarIT1_EET3_PKS5_PKT2_SA_S7_PKT4_S5_PKT5_S4_PT6_21rocsparse_index_base_b.numbered_sgpr, 36
	.set _ZN9rocsparseL22bsrxmvn_general_kernelILj256ELj16EiliaaiEEv20rocsparse_direction_NS_24const_host_device_scalarIT1_EET3_PKS5_PKT2_SA_S7_PKT4_S5_PKT5_S4_PT6_21rocsparse_index_base_b.num_named_barrier, 0
	.set _ZN9rocsparseL22bsrxmvn_general_kernelILj256ELj16EiliaaiEEv20rocsparse_direction_NS_24const_host_device_scalarIT1_EET3_PKS5_PKT2_SA_S7_PKT4_S5_PKT5_S4_PT6_21rocsparse_index_base_b.private_seg_size, 0
	.set _ZN9rocsparseL22bsrxmvn_general_kernelILj256ELj16EiliaaiEEv20rocsparse_direction_NS_24const_host_device_scalarIT1_EET3_PKS5_PKT2_SA_S7_PKT4_S5_PKT5_S4_PT6_21rocsparse_index_base_b.uses_vcc, 1
	.set _ZN9rocsparseL22bsrxmvn_general_kernelILj256ELj16EiliaaiEEv20rocsparse_direction_NS_24const_host_device_scalarIT1_EET3_PKS5_PKT2_SA_S7_PKT4_S5_PKT5_S4_PT6_21rocsparse_index_base_b.uses_flat_scratch, 0
	.set _ZN9rocsparseL22bsrxmvn_general_kernelILj256ELj16EiliaaiEEv20rocsparse_direction_NS_24const_host_device_scalarIT1_EET3_PKS5_PKT2_SA_S7_PKT4_S5_PKT5_S4_PT6_21rocsparse_index_base_b.has_dyn_sized_stack, 0
	.set _ZN9rocsparseL22bsrxmvn_general_kernelILj256ELj16EiliaaiEEv20rocsparse_direction_NS_24const_host_device_scalarIT1_EET3_PKS5_PKT2_SA_S7_PKT4_S5_PKT5_S4_PT6_21rocsparse_index_base_b.has_recursion, 0
	.set _ZN9rocsparseL22bsrxmvn_general_kernelILj256ELj16EiliaaiEEv20rocsparse_direction_NS_24const_host_device_scalarIT1_EET3_PKS5_PKT2_SA_S7_PKT4_S5_PKT5_S4_PT6_21rocsparse_index_base_b.has_indirect_call, 0
	.section	.AMDGPU.csdata,"",@progbits
; Kernel info:
; codeLenInByte = 1248
; TotalNumSgprs: 38
; NumVgprs: 22
; ScratchSize: 0
; MemoryBound: 0
; FloatMode: 240
; IeeeMode: 1
; LDSByteSize: 0 bytes/workgroup (compile time only)
; SGPRBlocks: 0
; VGPRBlocks: 2
; NumSGPRsForWavesPerEU: 38
; NumVGPRsForWavesPerEU: 22
; Occupancy: 16
; WaveLimiterHint : 1
; COMPUTE_PGM_RSRC2:SCRATCH_EN: 0
; COMPUTE_PGM_RSRC2:USER_SGPR: 2
; COMPUTE_PGM_RSRC2:TRAP_HANDLER: 0
; COMPUTE_PGM_RSRC2:TGID_X_EN: 1
; COMPUTE_PGM_RSRC2:TGID_Y_EN: 0
; COMPUTE_PGM_RSRC2:TGID_Z_EN: 0
; COMPUTE_PGM_RSRC2:TIDIG_COMP_CNT: 0
	.section	.text._ZN9rocsparseL22bsrxmvn_general_kernelILj1024ELj32EiliaaiEEv20rocsparse_direction_NS_24const_host_device_scalarIT1_EET3_PKS5_PKT2_SA_S7_PKT4_S5_PKT5_S4_PT6_21rocsparse_index_base_b,"axG",@progbits,_ZN9rocsparseL22bsrxmvn_general_kernelILj1024ELj32EiliaaiEEv20rocsparse_direction_NS_24const_host_device_scalarIT1_EET3_PKS5_PKT2_SA_S7_PKT4_S5_PKT5_S4_PT6_21rocsparse_index_base_b,comdat
	.globl	_ZN9rocsparseL22bsrxmvn_general_kernelILj1024ELj32EiliaaiEEv20rocsparse_direction_NS_24const_host_device_scalarIT1_EET3_PKS5_PKT2_SA_S7_PKT4_S5_PKT5_S4_PT6_21rocsparse_index_base_b ; -- Begin function _ZN9rocsparseL22bsrxmvn_general_kernelILj1024ELj32EiliaaiEEv20rocsparse_direction_NS_24const_host_device_scalarIT1_EET3_PKS5_PKT2_SA_S7_PKT4_S5_PKT5_S4_PT6_21rocsparse_index_base_b
	.p2align	8
	.type	_ZN9rocsparseL22bsrxmvn_general_kernelILj1024ELj32EiliaaiEEv20rocsparse_direction_NS_24const_host_device_scalarIT1_EET3_PKS5_PKT2_SA_S7_PKT4_S5_PKT5_S4_PT6_21rocsparse_index_base_b,@function
_ZN9rocsparseL22bsrxmvn_general_kernelILj1024ELj32EiliaaiEEv20rocsparse_direction_NS_24const_host_device_scalarIT1_EET3_PKS5_PKT2_SA_S7_PKT4_S5_PKT5_S4_PT6_21rocsparse_index_base_b: ; @_ZN9rocsparseL22bsrxmvn_general_kernelILj1024ELj32EiliaaiEEv20rocsparse_direction_NS_24const_host_device_scalarIT1_EET3_PKS5_PKT2_SA_S7_PKT4_S5_PKT5_S4_PT6_21rocsparse_index_base_b
; %bb.0:
	s_clause 0x1
	s_load_b64 s[2:3], s[0:1], 0x60
	s_load_b64 s[6:7], s[0:1], 0x8
	s_mov_b32 s8, -1
                                        ; implicit-def: $sgpr24
	s_wait_kmcnt 0x0
	s_bitcmp1_b32 s3, 0
	s_cselect_b32 s3, -1, 0
	s_delay_alu instid0(SALU_CYCLE_1) | instskip(NEXT) | instid1(SALU_CYCLE_1)
	s_xor_b32 s3, s3, -1
	s_and_b32 vcc_lo, exec_lo, s3
	s_cbranch_vccnz .LBB41_4
; %bb.1:
	s_load_b64 s[4:5], s[0:1], 0x50
	s_and_not1_b32 vcc_lo, exec_lo, s8
	s_cbranch_vccz .LBB41_5
.LBB41_2:
	s_and_b32 vcc_lo, exec_lo, s3
	s_cbranch_vccz .LBB41_6
.LBB41_3:
	s_wait_kmcnt 0x0
	s_load_b32 s25, s[4:5], 0x0
	s_cbranch_execz .LBB41_7
	s_branch .LBB41_8
.LBB41_4:
	s_load_b32 s24, s[6:7], 0x0
	s_load_b64 s[4:5], s[0:1], 0x50
	s_cbranch_execnz .LBB41_2
.LBB41_5:
	s_wait_kmcnt 0x0
	s_mov_b32 s24, s6
	s_and_b32 vcc_lo, exec_lo, s3
	s_cbranch_vccnz .LBB41_3
.LBB41_6:
                                        ; implicit-def: $sgpr25
.LBB41_7:
	s_wait_kmcnt 0x0
	s_mov_b32 s25, s4
.LBB41_8:
	s_wait_kmcnt 0x0
	s_cmp_lg_u32 s24, 0
	s_cselect_b32 s3, -1, 0
	s_cmp_lg_u32 s25, 1
	s_cselect_b32 s4, -1, 0
	s_delay_alu instid0(SALU_CYCLE_1) | instskip(NEXT) | instid1(SALU_CYCLE_1)
	s_or_b32 s3, s3, s4
	s_and_not1_b32 vcc_lo, exec_lo, s3
	s_cbranch_vccnz .LBB41_31
; %bb.9:
	s_load_b64 s[4:5], s[0:1], 0x18
	s_wait_kmcnt 0x0
	s_cmp_eq_u64 s[4:5], 0
	s_cbranch_scc1 .LBB41_11
; %bb.10:
	s_mov_b32 s6, ttmp9
	s_ashr_i32 s7, ttmp9, 31
	s_delay_alu instid0(SALU_CYCLE_1) | instskip(NEXT) | instid1(SALU_CYCLE_1)
	s_lshl_b64 s[6:7], s[6:7], 2
	s_add_nc_u64 s[4:5], s[4:5], s[6:7]
	s_load_b32 s3, s[4:5], 0x0
	s_wait_kmcnt 0x0
	s_sub_co_i32 s20, s3, s2
	s_branch .LBB41_12
.LBB41_11:
	s_mov_b32 s20, ttmp9
.LBB41_12:
	s_load_b32 s12, s[0:1], 0x40
	v_lshrrev_b32_e32 v1, 5, v0
	s_mov_b32 s3, exec_lo
	s_wait_kmcnt 0x0
	s_delay_alu instid0(VALU_DEP_1)
	v_cmpx_gt_i32_e64 s12, v1
	s_cbranch_execz .LBB41_31
; %bb.13:
	s_clause 0x2
	s_load_b256 s[4:11], s[0:1], 0x20
	s_load_b64 s[14:15], s[0:1], 0x58
	s_load_b64 s[16:17], s[0:1], 0x48
	v_dual_mov_b32 v2, 0 :: v_dual_and_b32 v3, 31, v0
	v_mbcnt_lo_u32_b32 v0, -1, 0
	s_ashr_i32 s21, s20, 31
	s_load_b32 s28, s[0:1], 0x0
	s_lshl_b64 s[22:23], s[20:21], 3
	s_mov_b32 s3, 0
	v_xor_b32_e32 v4, 16, v0
	v_xor_b32_e32 v5, 8, v0
	;; [unrolled: 1-line block ×5, first 2 shown]
	v_cmp_gt_i32_e32 vcc_lo, 32, v4
	v_mul_lo_u32 v16, s12, v1
	v_mul_lo_u32 v17, s12, v3
	s_mov_b32 s13, s3
	v_cmp_gt_u32_e64 s0, s12, v3
	s_wait_kmcnt 0x0
	s_add_nc_u64 s[4:5], s[4:5], s[22:23]
	v_cndmask_b32_e32 v4, v0, v4, vcc_lo
	v_cmp_gt_i32_e32 vcc_lo, 32, v5
	s_add_nc_u64 s[22:23], s[6:7], s[22:23]
	s_cmp_eq_u64 s[6:7], 0
	s_add_nc_u64 s[6:7], s[4:5], 8
	v_cmp_eq_u32_e64 s1, 31, v3
	s_cselect_b32 s7, s7, s23
	s_cselect_b32 s6, s6, s22
	s_load_b64 s[22:23], s[4:5], 0x0
	s_load_b64 s[26:27], s[6:7], 0x0
	v_cndmask_b32_e32 v5, v0, v5, vcc_lo
	v_cmp_gt_i32_e32 vcc_lo, 32, v6
	s_cmp_lg_u32 s28, 0
	s_mul_u64 s[18:19], s[12:13], s[12:13]
	s_cselect_b32 s13, -1, 0
	s_cmp_lg_u32 s25, 0
	s_wait_alu 0xfffd
	v_cndmask_b32_e32 v6, v0, v6, vcc_lo
	v_cmp_gt_i32_e32 vcc_lo, 32, v7
	s_mul_i32 s28, s20, s12
	s_delay_alu instid0(VALU_DEP_2) | instskip(SKIP_4) | instid1(VALU_DEP_3)
	v_lshlrev_b32_e32 v13, 2, v6
	s_wait_alu 0xfffd
	v_cndmask_b32_e32 v7, v0, v7, vcc_lo
	v_cmp_gt_i32_e32 vcc_lo, 32, v8
	v_dual_mov_b32 v4, v2 :: v_dual_lshlrev_b32 v11, 2, v4
	v_lshlrev_b32_e32 v14, 2, v7
	s_wait_alu 0xfffd
	v_cndmask_b32_e32 v0, v0, v8, vcc_lo
	s_wait_kmcnt 0x0
	s_sub_nc_u64 s[6:7], s[26:27], s[2:3]
	v_cmp_lt_i64_e64 s26, s[22:23], s[26:27]
	v_lshlrev_b32_e32 v12, 2, v5
	s_sub_nc_u64 s[4:5], s[22:23], s[2:3]
	v_lshlrev_b32_e32 v15, 2, v0
	s_cselect_b32 s27, -1, 0
	s_mul_u64 s[20:21], s[4:5], s[18:19]
	s_lshl_b32 s29, s12, 5
	s_branch .LBB41_15
.LBB41_14:                              ;   in Loop: Header=BB41_15 Depth=1
	s_wait_alu 0xfffe
	s_or_b32 exec_lo, exec_lo, s22
	v_add_nc_u32_e32 v1, 32, v1
	v_add_nc_u32_e32 v16, s29, v16
	s_delay_alu instid0(VALU_DEP_2) | instskip(SKIP_1) | instid1(SALU_CYCLE_1)
	v_cmp_le_i32_e32 vcc_lo, s12, v1
	s_or_b32 s3, vcc_lo, s3
	s_and_not1_b32 exec_lo, exec_lo, s3
	s_cbranch_execz .LBB41_31
.LBB41_15:                              ; =>This Loop Header: Depth=1
                                        ;     Child Loop BB41_19 Depth 2
                                        ;       Child Loop BB41_22 Depth 3
	v_mov_b32_e32 v0, 0
	s_and_not1_b32 vcc_lo, exec_lo, s26
	s_wait_alu 0xfffe
	s_cbranch_vccnz .LBB41_26
; %bb.16:                               ;   in Loop: Header=BB41_15 Depth=1
	v_ashrrev_i32_e32 v0, 31, v16
	v_add_co_u32 v18, vcc_lo, s20, v16
	s_mov_b64 s[22:23], s[4:5]
	s_wait_alu 0xfffd
	v_add_co_ci_u32_e64 v19, null, s21, v0, vcc_lo
	v_mov_b32_e32 v0, 0
	s_branch .LBB41_19
.LBB41_17:                              ;   in Loop: Header=BB41_19 Depth=2
	s_or_b32 exec_lo, exec_lo, s31
.LBB41_18:                              ;   in Loop: Header=BB41_19 Depth=2
	s_delay_alu instid0(SALU_CYCLE_1)
	s_or_b32 exec_lo, exec_lo, s30
	s_wait_alu 0xfffe
	s_add_nc_u64 s[22:23], s[22:23], 1
	v_add_co_u32 v18, vcc_lo, v18, s18
	s_wait_alu 0xfffe
	v_cmp_ge_i64_e64 s30, s[22:23], s[6:7]
	s_wait_alu 0xfffd
	v_add_co_ci_u32_e64 v19, null, s19, v19, vcc_lo
	s_and_b32 vcc_lo, exec_lo, s30
	s_wait_alu 0xfffe
	s_cbranch_vccnz .LBB41_26
.LBB41_19:                              ;   Parent Loop BB41_15 Depth=1
                                        ; =>  This Loop Header: Depth=2
                                        ;       Child Loop BB41_22 Depth 3
	s_and_saveexec_b32 s30, s0
	s_cbranch_execz .LBB41_18
; %bb.20:                               ;   in Loop: Header=BB41_19 Depth=2
	s_wait_alu 0xfffe
	s_lshl_b64 s[34:35], s[22:23], 2
	s_wait_dscnt 0x0
	v_mad_co_u64_u32 v[5:6], null, s18, s22, v[1:2]
	s_wait_alu 0xfffe
	s_add_nc_u64 s[34:35], s[8:9], s[34:35]
	s_mul_i32 s33, s19, s22
	s_load_b32 s31, s[34:35], 0x0
	s_mul_i32 s34, s18, s23
	v_mov_b32_e32 v8, v4
	v_dual_mov_b32 v20, v17 :: v_dual_mov_b32 v7, v3
	s_wait_alu 0xfffe
	v_add3_u32 v6, s34, s33, v6
	s_wait_kmcnt 0x0
	s_sub_co_i32 s31, s31, s2
	s_delay_alu instid0(SALU_CYCLE_1)
	s_mul_i32 s33, s31, s12
	s_mov_b32 s31, 0
	s_branch .LBB41_22
.LBB41_21:                              ;   in Loop: Header=BB41_22 Depth=3
	v_add_nc_u32_e32 v21, s33, v7
	v_add_co_u32 v9, vcc_lo, s10, v9
	s_wait_alu 0xfffd
	v_add_co_ci_u32_e64 v10, null, s11, v10, vcc_lo
	s_delay_alu instid0(VALU_DEP_3) | instskip(SKIP_3) | instid1(VALU_DEP_3)
	v_ashrrev_i32_e32 v22, 31, v21
	v_add_co_u32 v21, vcc_lo, s16, v21
	v_add_nc_u32_e32 v20, s29, v20
	s_wait_alu 0xfffd
	v_add_co_ci_u32_e64 v22, null, s17, v22, vcc_lo
	v_add_co_u32 v7, vcc_lo, v7, 32
	global_load_i8 v9, v[9:10], off
	global_load_i8 v10, v[21:22], off
	s_wait_alu 0xfffd
	v_add_co_ci_u32_e64 v8, null, 0, v8, vcc_lo
	v_cmp_le_i32_e32 vcc_lo, s12, v7
	s_or_b32 s31, vcc_lo, s31
	s_wait_loadcnt 0x0
	v_mad_i32_i24 v0, v10, v9, v0
	s_and_not1_b32 exec_lo, exec_lo, s31
	s_cbranch_execz .LBB41_17
.LBB41_22:                              ;   Parent Loop BB41_15 Depth=1
                                        ;     Parent Loop BB41_19 Depth=2
                                        ; =>    This Inner Loop Header: Depth=3
	s_and_b32 vcc_lo, exec_lo, s13
	s_wait_alu 0xfffe
	s_cbranch_vccz .LBB41_24
; %bb.23:                               ;   in Loop: Header=BB41_22 Depth=3
	v_ashrrev_i32_e32 v10, 31, v20
	v_add_co_u32 v9, vcc_lo, v5, v20
	s_wait_alu 0xfffd
	s_delay_alu instid0(VALU_DEP_2)
	v_add_co_ci_u32_e64 v10, null, v6, v10, vcc_lo
	s_cbranch_execnz .LBB41_21
	s_branch .LBB41_25
.LBB41_24:                              ;   in Loop: Header=BB41_22 Depth=3
                                        ; implicit-def: $vgpr9_vgpr10
.LBB41_25:                              ;   in Loop: Header=BB41_22 Depth=3
	v_add_co_u32 v9, vcc_lo, v18, v7
	s_wait_alu 0xfffd
	v_add_co_ci_u32_e64 v10, null, v19, v8, vcc_lo
	s_branch .LBB41_21
.LBB41_26:                              ;   in Loop: Header=BB41_15 Depth=1
	s_wait_dscnt 0x0
	ds_bpermute_b32 v5, v11, v0
	s_wait_dscnt 0x0
	v_add_nc_u32_e32 v0, v5, v0
	ds_bpermute_b32 v5, v12, v0
	s_wait_dscnt 0x0
	v_add_nc_u32_e32 v0, v5, v0
	;; [unrolled: 3-line block ×4, first 2 shown]
	ds_bpermute_b32 v5, v15, v0
	s_and_saveexec_b32 s22, s1
	s_cbranch_execz .LBB41_14
; %bb.27:                               ;   in Loop: Header=BB41_15 Depth=1
	s_wait_dscnt 0x0
	v_add_nc_u32_e32 v0, v5, v0
	v_add_nc_u32_e32 v5, s28, v1
	s_and_not1_b32 vcc_lo, exec_lo, s27
	s_delay_alu instid0(VALU_DEP_2) | instskip(NEXT) | instid1(VALU_DEP_2)
	v_mul_lo_u32 v0, v0, s24
	v_ashrrev_i32_e32 v6, 31, v5
	s_wait_alu 0xfffe
	s_cbranch_vccnz .LBB41_29
; %bb.28:                               ;   in Loop: Header=BB41_15 Depth=1
	s_delay_alu instid0(VALU_DEP_1) | instskip(NEXT) | instid1(VALU_DEP_1)
	v_lshlrev_b64_e32 v[7:8], 2, v[5:6]
	v_add_co_u32 v7, vcc_lo, s14, v7
	s_wait_alu 0xfffd
	s_delay_alu instid0(VALU_DEP_2)
	v_add_co_ci_u32_e64 v8, null, s15, v8, vcc_lo
	global_load_b32 v9, v[7:8], off
	s_wait_loadcnt 0x0
	v_mad_co_u64_u32 v[9:10], null, v9, s25, v[0:1]
	global_store_b32 v[7:8], v9, off
	s_cbranch_execnz .LBB41_14
	s_branch .LBB41_30
.LBB41_29:                              ;   in Loop: Header=BB41_15 Depth=1
.LBB41_30:                              ;   in Loop: Header=BB41_15 Depth=1
	s_delay_alu instid0(VALU_DEP_1) | instskip(NEXT) | instid1(VALU_DEP_1)
	v_lshlrev_b64_e32 v[5:6], 2, v[5:6]
	v_add_co_u32 v5, vcc_lo, s14, v5
	s_wait_alu 0xfffd
	s_delay_alu instid0(VALU_DEP_2)
	v_add_co_ci_u32_e64 v6, null, s15, v6, vcc_lo
	global_store_b32 v[5:6], v0, off
	s_branch .LBB41_14
.LBB41_31:
	s_endpgm
	.section	.rodata,"a",@progbits
	.p2align	6, 0x0
	.amdhsa_kernel _ZN9rocsparseL22bsrxmvn_general_kernelILj1024ELj32EiliaaiEEv20rocsparse_direction_NS_24const_host_device_scalarIT1_EET3_PKS5_PKT2_SA_S7_PKT4_S5_PKT5_S4_PT6_21rocsparse_index_base_b
		.amdhsa_group_segment_fixed_size 0
		.amdhsa_private_segment_fixed_size 0
		.amdhsa_kernarg_size 104
		.amdhsa_user_sgpr_count 2
		.amdhsa_user_sgpr_dispatch_ptr 0
		.amdhsa_user_sgpr_queue_ptr 0
		.amdhsa_user_sgpr_kernarg_segment_ptr 1
		.amdhsa_user_sgpr_dispatch_id 0
		.amdhsa_user_sgpr_private_segment_size 0
		.amdhsa_wavefront_size32 1
		.amdhsa_uses_dynamic_stack 0
		.amdhsa_enable_private_segment 0
		.amdhsa_system_sgpr_workgroup_id_x 1
		.amdhsa_system_sgpr_workgroup_id_y 0
		.amdhsa_system_sgpr_workgroup_id_z 0
		.amdhsa_system_sgpr_workgroup_info 0
		.amdhsa_system_vgpr_workitem_id 0
		.amdhsa_next_free_vgpr 23
		.amdhsa_next_free_sgpr 36
		.amdhsa_reserve_vcc 1
		.amdhsa_float_round_mode_32 0
		.amdhsa_float_round_mode_16_64 0
		.amdhsa_float_denorm_mode_32 3
		.amdhsa_float_denorm_mode_16_64 3
		.amdhsa_fp16_overflow 0
		.amdhsa_workgroup_processor_mode 1
		.amdhsa_memory_ordered 1
		.amdhsa_forward_progress 1
		.amdhsa_inst_pref_size 10
		.amdhsa_round_robin_scheduling 0
		.amdhsa_exception_fp_ieee_invalid_op 0
		.amdhsa_exception_fp_denorm_src 0
		.amdhsa_exception_fp_ieee_div_zero 0
		.amdhsa_exception_fp_ieee_overflow 0
		.amdhsa_exception_fp_ieee_underflow 0
		.amdhsa_exception_fp_ieee_inexact 0
		.amdhsa_exception_int_div_zero 0
	.end_amdhsa_kernel
	.section	.text._ZN9rocsparseL22bsrxmvn_general_kernelILj1024ELj32EiliaaiEEv20rocsparse_direction_NS_24const_host_device_scalarIT1_EET3_PKS5_PKT2_SA_S7_PKT4_S5_PKT5_S4_PT6_21rocsparse_index_base_b,"axG",@progbits,_ZN9rocsparseL22bsrxmvn_general_kernelILj1024ELj32EiliaaiEEv20rocsparse_direction_NS_24const_host_device_scalarIT1_EET3_PKS5_PKT2_SA_S7_PKT4_S5_PKT5_S4_PT6_21rocsparse_index_base_b,comdat
.Lfunc_end41:
	.size	_ZN9rocsparseL22bsrxmvn_general_kernelILj1024ELj32EiliaaiEEv20rocsparse_direction_NS_24const_host_device_scalarIT1_EET3_PKS5_PKT2_SA_S7_PKT4_S5_PKT5_S4_PT6_21rocsparse_index_base_b, .Lfunc_end41-_ZN9rocsparseL22bsrxmvn_general_kernelILj1024ELj32EiliaaiEEv20rocsparse_direction_NS_24const_host_device_scalarIT1_EET3_PKS5_PKT2_SA_S7_PKT4_S5_PKT5_S4_PT6_21rocsparse_index_base_b
                                        ; -- End function
	.set _ZN9rocsparseL22bsrxmvn_general_kernelILj1024ELj32EiliaaiEEv20rocsparse_direction_NS_24const_host_device_scalarIT1_EET3_PKS5_PKT2_SA_S7_PKT4_S5_PKT5_S4_PT6_21rocsparse_index_base_b.num_vgpr, 23
	.set _ZN9rocsparseL22bsrxmvn_general_kernelILj1024ELj32EiliaaiEEv20rocsparse_direction_NS_24const_host_device_scalarIT1_EET3_PKS5_PKT2_SA_S7_PKT4_S5_PKT5_S4_PT6_21rocsparse_index_base_b.num_agpr, 0
	.set _ZN9rocsparseL22bsrxmvn_general_kernelILj1024ELj32EiliaaiEEv20rocsparse_direction_NS_24const_host_device_scalarIT1_EET3_PKS5_PKT2_SA_S7_PKT4_S5_PKT5_S4_PT6_21rocsparse_index_base_b.numbered_sgpr, 36
	.set _ZN9rocsparseL22bsrxmvn_general_kernelILj1024ELj32EiliaaiEEv20rocsparse_direction_NS_24const_host_device_scalarIT1_EET3_PKS5_PKT2_SA_S7_PKT4_S5_PKT5_S4_PT6_21rocsparse_index_base_b.num_named_barrier, 0
	.set _ZN9rocsparseL22bsrxmvn_general_kernelILj1024ELj32EiliaaiEEv20rocsparse_direction_NS_24const_host_device_scalarIT1_EET3_PKS5_PKT2_SA_S7_PKT4_S5_PKT5_S4_PT6_21rocsparse_index_base_b.private_seg_size, 0
	.set _ZN9rocsparseL22bsrxmvn_general_kernelILj1024ELj32EiliaaiEEv20rocsparse_direction_NS_24const_host_device_scalarIT1_EET3_PKS5_PKT2_SA_S7_PKT4_S5_PKT5_S4_PT6_21rocsparse_index_base_b.uses_vcc, 1
	.set _ZN9rocsparseL22bsrxmvn_general_kernelILj1024ELj32EiliaaiEEv20rocsparse_direction_NS_24const_host_device_scalarIT1_EET3_PKS5_PKT2_SA_S7_PKT4_S5_PKT5_S4_PT6_21rocsparse_index_base_b.uses_flat_scratch, 0
	.set _ZN9rocsparseL22bsrxmvn_general_kernelILj1024ELj32EiliaaiEEv20rocsparse_direction_NS_24const_host_device_scalarIT1_EET3_PKS5_PKT2_SA_S7_PKT4_S5_PKT5_S4_PT6_21rocsparse_index_base_b.has_dyn_sized_stack, 0
	.set _ZN9rocsparseL22bsrxmvn_general_kernelILj1024ELj32EiliaaiEEv20rocsparse_direction_NS_24const_host_device_scalarIT1_EET3_PKS5_PKT2_SA_S7_PKT4_S5_PKT5_S4_PT6_21rocsparse_index_base_b.has_recursion, 0
	.set _ZN9rocsparseL22bsrxmvn_general_kernelILj1024ELj32EiliaaiEEv20rocsparse_direction_NS_24const_host_device_scalarIT1_EET3_PKS5_PKT2_SA_S7_PKT4_S5_PKT5_S4_PT6_21rocsparse_index_base_b.has_indirect_call, 0
	.section	.AMDGPU.csdata,"",@progbits
; Kernel info:
; codeLenInByte = 1280
; TotalNumSgprs: 38
; NumVgprs: 23
; ScratchSize: 0
; MemoryBound: 0
; FloatMode: 240
; IeeeMode: 1
; LDSByteSize: 0 bytes/workgroup (compile time only)
; SGPRBlocks: 0
; VGPRBlocks: 2
; NumSGPRsForWavesPerEU: 38
; NumVGPRsForWavesPerEU: 23
; Occupancy: 16
; WaveLimiterHint : 1
; COMPUTE_PGM_RSRC2:SCRATCH_EN: 0
; COMPUTE_PGM_RSRC2:USER_SGPR: 2
; COMPUTE_PGM_RSRC2:TRAP_HANDLER: 0
; COMPUTE_PGM_RSRC2:TGID_X_EN: 1
; COMPUTE_PGM_RSRC2:TGID_Y_EN: 0
; COMPUTE_PGM_RSRC2:TGID_Z_EN: 0
; COMPUTE_PGM_RSRC2:TIDIG_COMP_CNT: 0
	.section	.text._ZN9rocsparseL22bsrxmvn_general_kernelILj64ELj8EillaaiEEv20rocsparse_direction_NS_24const_host_device_scalarIT1_EET3_PKS5_PKT2_SA_S7_PKT4_S5_PKT5_S4_PT6_21rocsparse_index_base_b,"axG",@progbits,_ZN9rocsparseL22bsrxmvn_general_kernelILj64ELj8EillaaiEEv20rocsparse_direction_NS_24const_host_device_scalarIT1_EET3_PKS5_PKT2_SA_S7_PKT4_S5_PKT5_S4_PT6_21rocsparse_index_base_b,comdat
	.globl	_ZN9rocsparseL22bsrxmvn_general_kernelILj64ELj8EillaaiEEv20rocsparse_direction_NS_24const_host_device_scalarIT1_EET3_PKS5_PKT2_SA_S7_PKT4_S5_PKT5_S4_PT6_21rocsparse_index_base_b ; -- Begin function _ZN9rocsparseL22bsrxmvn_general_kernelILj64ELj8EillaaiEEv20rocsparse_direction_NS_24const_host_device_scalarIT1_EET3_PKS5_PKT2_SA_S7_PKT4_S5_PKT5_S4_PT6_21rocsparse_index_base_b
	.p2align	8
	.type	_ZN9rocsparseL22bsrxmvn_general_kernelILj64ELj8EillaaiEEv20rocsparse_direction_NS_24const_host_device_scalarIT1_EET3_PKS5_PKT2_SA_S7_PKT4_S5_PKT5_S4_PT6_21rocsparse_index_base_b,@function
_ZN9rocsparseL22bsrxmvn_general_kernelILj64ELj8EillaaiEEv20rocsparse_direction_NS_24const_host_device_scalarIT1_EET3_PKS5_PKT2_SA_S7_PKT4_S5_PKT5_S4_PT6_21rocsparse_index_base_b: ; @_ZN9rocsparseL22bsrxmvn_general_kernelILj64ELj8EillaaiEEv20rocsparse_direction_NS_24const_host_device_scalarIT1_EET3_PKS5_PKT2_SA_S7_PKT4_S5_PKT5_S4_PT6_21rocsparse_index_base_b
; %bb.0:
	s_clause 0x1
	s_load_b64 s[12:13], s[0:1], 0x60
	s_load_b64 s[4:5], s[0:1], 0x8
	s_mov_b32 s7, -1
                                        ; implicit-def: $sgpr28
	s_wait_kmcnt 0x0
	s_bitcmp1_b32 s13, 0
	s_cselect_b32 s2, -1, 0
	s_delay_alu instid0(SALU_CYCLE_1) | instskip(NEXT) | instid1(SALU_CYCLE_1)
	s_xor_b32 s6, s2, -1
	s_and_b32 vcc_lo, exec_lo, s6
	s_cbranch_vccnz .LBB42_4
; %bb.1:
	s_load_b64 s[2:3], s[0:1], 0x50
	s_and_not1_b32 vcc_lo, exec_lo, s7
	s_cbranch_vccz .LBB42_5
.LBB42_2:
	s_and_b32 vcc_lo, exec_lo, s6
	s_cbranch_vccz .LBB42_6
.LBB42_3:
	s_wait_kmcnt 0x0
	s_load_b32 s29, s[2:3], 0x0
	s_cbranch_execz .LBB42_7
	s_branch .LBB42_8
.LBB42_4:
	s_load_b32 s28, s[4:5], 0x0
	s_load_b64 s[2:3], s[0:1], 0x50
	s_cbranch_execnz .LBB42_2
.LBB42_5:
	s_wait_kmcnt 0x0
	s_mov_b32 s28, s4
	s_and_b32 vcc_lo, exec_lo, s6
	s_cbranch_vccnz .LBB42_3
.LBB42_6:
	s_wait_kmcnt 0x0
                                        ; implicit-def: $sgpr29
.LBB42_7:
	s_wait_kmcnt 0x0
	s_mov_b32 s29, s2
.LBB42_8:
	s_cmp_lg_u32 s28, 0
	s_cselect_b32 s2, -1, 0
	s_wait_kmcnt 0x0
	s_cmp_lg_u32 s29, 1
	s_cselect_b32 s3, -1, 0
	s_delay_alu instid0(SALU_CYCLE_1)
	s_or_b32 s2, s2, s3
	s_mov_b32 s3, 0
	s_and_not1_b32 vcc_lo, exec_lo, s2
	s_cbranch_vccnz .LBB42_30
; %bb.9:
	s_load_b64 s[4:5], s[0:1], 0x18
	s_mov_b32 s2, ttmp9
	s_mov_b32 s13, s3
	s_wait_kmcnt 0x0
	s_cmp_eq_u64 s[4:5], 0
	s_cbranch_scc1 .LBB42_11
; %bb.10:
	s_lshl_b64 s[2:3], s[2:3], 3
	s_delay_alu instid0(SALU_CYCLE_1)
	s_add_nc_u64 s[2:3], s[4:5], s[2:3]
	s_load_b64 s[2:3], s[2:3], 0x0
	s_wait_kmcnt 0x0
	s_sub_nc_u64 s[2:3], s[2:3], s[12:13]
.LBB42_11:
	s_load_b64 s[14:15], s[0:1], 0x40
	v_lshrrev_b32_e32 v1, 3, v0
	v_mov_b32_e32 v2, 0
	s_mov_b32 s4, exec_lo
	s_wait_kmcnt 0x0
	s_delay_alu instid0(VALU_DEP_1)
	v_cmpx_gt_i64_e64 s[14:15], v[1:2]
	s_cbranch_execz .LBB42_30
; %bb.12:
	s_clause 0x2
	s_load_b256 s[4:11], s[0:1], 0x20
	s_load_b64 s[18:19], s[0:1], 0x58
	s_load_b64 s[16:17], s[0:1], 0x48
	s_lshl_b64 s[20:21], s[2:3], 3
	v_dual_mov_b32 v4, v2 :: v_dual_and_b32 v3, 7, v0
	v_mbcnt_lo_u32_b32 v0, -1, 0
	s_load_b32 s24, s[0:1], 0x0
	s_mul_u64 s[2:3], s[2:3], s[14:15]
	s_delay_alu instid0(VALU_DEP_2)
	v_cmp_eq_u32_e64 s1, 7, v3
	v_cmp_gt_u64_e64 s0, s[14:15], v[3:4]
	v_xor_b32_e32 v5, 4, v0
	v_xor_b32_e32 v6, 2, v0
	v_xor_b32_e32 v7, 1, v0
	s_mov_b32 s30, 0
	s_delay_alu instid0(VALU_DEP_3)
	v_cmp_gt_i32_e32 vcc_lo, 32, v5
	s_wait_kmcnt 0x0
	s_add_nc_u64 s[4:5], s[4:5], s[20:21]
	s_add_nc_u64 s[20:21], s[6:7], s[20:21]
	s_load_b64 s[22:23], s[4:5], 0x0
	s_cmp_eq_u64 s[6:7], 0
	s_add_nc_u64 s[4:5], s[4:5], 8
	v_cndmask_b32_e32 v8, v0, v5, vcc_lo
	v_cmp_gt_i32_e32 vcc_lo, 32, v6
	s_cselect_b32 s5, s5, s21
	s_cselect_b32 s4, s4, s20
	s_cmp_lg_u32 s24, 0
	s_load_b64 s[20:21], s[4:5], 0x0
	v_cndmask_b32_e32 v9, v0, v6, vcc_lo
	v_cmp_gt_i32_e32 vcc_lo, 32, v7
	s_cselect_b32 s31, -1, 0
	s_cmp_lg_u32 s29, 0
	s_delay_alu instid0(VALU_DEP_2) | instskip(SKIP_4) | instid1(SALU_CYCLE_1)
	v_lshlrev_b32_e32 v14, 2, v9
	s_wait_alu 0xfffd
	v_cndmask_b32_e32 v0, v0, v7, vcc_lo
	s_cselect_b32 s33, -1, 0
	s_lshl_b64 s[2:3], s[2:3], 2
	s_add_nc_u64 s[18:19], s[18:19], s[2:3]
	s_wait_kmcnt 0x0
	s_sub_nc_u64 s[4:5], s[22:23], s[12:13]
	v_lshlrev_b32_e32 v15, 2, v0
	v_mad_co_u64_u32 v[5:6], null, s14, s4, v[1:2]
	s_mul_i32 s6, s15, s4
	s_mul_i32 s7, s14, s5
	v_lshlrev_b32_e32 v13, 2, v8
	v_cmp_lt_i64_e64 s34, s[22:23], s[20:21]
	s_mul_u64 s[22:23], s[14:15], s[14:15]
	v_add3_u32 v7, s7, s6, v6
	v_mul_lo_u32 v8, s15, v5
	v_mad_co_u64_u32 v[5:6], null, s14, v5, 0
	s_sub_nc_u64 s[6:7], s[20:21], s[12:13]
	v_mul_lo_u32 v7, s14, v7
	s_lshl_b64 s[20:21], s[14:15], 3
	s_delay_alu instid0(VALU_DEP_1)
	v_add3_u32 v6, v6, v7, v8
	s_branch .LBB42_14
.LBB42_13:                              ;   in Loop: Header=BB42_14 Depth=1
	s_wait_alu 0xfffe
	s_or_b32 exec_lo, exec_lo, s2
	v_add_co_u32 v1, vcc_lo, v1, 8
	s_wait_alu 0xfffd
	v_add_co_ci_u32_e64 v2, null, 0, v2, vcc_lo
	v_add_co_u32 v5, s2, v5, s20
	s_wait_alu 0xf1ff
	v_add_co_ci_u32_e64 v6, null, s21, v6, s2
	s_delay_alu instid0(VALU_DEP_3) | instskip(SKIP_1) | instid1(SALU_CYCLE_1)
	v_cmp_le_i64_e32 vcc_lo, s[14:15], v[1:2]
	s_or_b32 s30, vcc_lo, s30
	s_and_not1_b32 exec_lo, exec_lo, s30
	s_cbranch_execz .LBB42_30
.LBB42_14:                              ; =>This Loop Header: Depth=1
                                        ;     Child Loop BB42_18 Depth 2
                                        ;       Child Loop BB42_21 Depth 3
	v_mov_b32_e32 v0, 0
	s_and_not1_b32 vcc_lo, exec_lo, s34
	s_wait_alu 0xfffe
	s_cbranch_vccnz .LBB42_25
; %bb.15:                               ;   in Loop: Header=BB42_14 Depth=1
	s_wait_dscnt 0x0
	v_mov_b32_e32 v8, v6
	v_dual_mov_b32 v0, 0 :: v_dual_mov_b32 v7, v5
	s_mov_b64 s[2:3], s[4:5]
	s_branch .LBB42_18
.LBB42_16:                              ;   in Loop: Header=BB42_18 Depth=2
	s_or_b32 exec_lo, exec_lo, s36
.LBB42_17:                              ;   in Loop: Header=BB42_18 Depth=2
	s_delay_alu instid0(SALU_CYCLE_1)
	s_or_b32 exec_lo, exec_lo, s35
	s_wait_alu 0xfffe
	s_add_nc_u64 s[2:3], s[2:3], 1
	v_add_co_u32 v7, vcc_lo, v7, s22
	s_wait_alu 0xfffe
	v_cmp_ge_i64_e64 s24, s[2:3], s[6:7]
	s_wait_alu 0xfffd
	v_add_co_ci_u32_e64 v8, null, s23, v8, vcc_lo
	s_and_b32 vcc_lo, exec_lo, s24
	s_wait_alu 0xfffe
	s_cbranch_vccnz .LBB42_25
.LBB42_18:                              ;   Parent Loop BB42_14 Depth=1
                                        ; =>  This Loop Header: Depth=2
                                        ;       Child Loop BB42_21 Depth 3
	s_and_saveexec_b32 s35, s0
	s_cbranch_execz .LBB42_17
; %bb.19:                               ;   in Loop: Header=BB42_18 Depth=2
	s_wait_alu 0xfffe
	s_lshl_b64 s[24:25], s[2:3], 3
	v_dual_mov_b32 v10, v4 :: v_dual_mov_b32 v9, v3
	s_wait_alu 0xfffe
	s_add_nc_u64 s[24:25], s[8:9], s[24:25]
	s_mov_b32 s36, 0
	s_load_b64 s[24:25], s[24:25], 0x0
	s_wait_kmcnt 0x0
	s_sub_nc_u64 s[24:25], s[24:25], s[12:13]
	s_wait_alu 0xfffe
	s_mul_u64 s[26:27], s[24:25], s[14:15]
	s_mul_u64 s[24:25], s[2:3], s[14:15]
	s_wait_alu 0xfffe
	s_add_nc_u64 s[26:27], s[16:17], s[26:27]
	s_branch .LBB42_21
.LBB42_20:                              ;   in Loop: Header=BB42_21 Depth=3
	s_delay_alu instid0(VALU_DEP_2) | instskip(SKIP_1) | instid1(VALU_DEP_2)
	v_add_co_u32 v11, vcc_lo, s10, v11
	s_wait_alu 0xfffd
	v_add_co_ci_u32_e64 v12, null, s11, v12, vcc_lo
	v_add_co_u32 v16, vcc_lo, s26, v9
	s_wait_alu 0xfffd
	v_add_co_ci_u32_e64 v17, null, s27, v10, vcc_lo
	global_load_i8 v11, v[11:12], off
	global_load_i8 v12, v[16:17], off
	v_add_co_u32 v9, vcc_lo, v9, 8
	s_wait_alu 0xfffd
	v_add_co_ci_u32_e64 v10, null, 0, v10, vcc_lo
	s_delay_alu instid0(VALU_DEP_1)
	v_cmp_le_i64_e32 vcc_lo, s[14:15], v[9:10]
	s_or_b32 s36, vcc_lo, s36
	s_wait_loadcnt 0x0
	v_mad_i32_i24 v0, v12, v11, v0
	s_and_not1_b32 exec_lo, exec_lo, s36
	s_cbranch_execz .LBB42_16
.LBB42_21:                              ;   Parent Loop BB42_14 Depth=1
                                        ;     Parent Loop BB42_18 Depth=2
                                        ; =>    This Inner Loop Header: Depth=3
	s_and_b32 vcc_lo, exec_lo, s31
	s_wait_alu 0xfffe
	s_cbranch_vccz .LBB42_23
; %bb.22:                               ;   in Loop: Header=BB42_21 Depth=3
	v_add_co_u32 v11, vcc_lo, v9, s24
	s_wait_alu 0xfffd
	v_add_co_ci_u32_e64 v12, null, s25, v10, vcc_lo
	s_delay_alu instid0(VALU_DEP_2) | instskip(NEXT) | instid1(VALU_DEP_2)
	v_mul_lo_u32 v16, v11, s15
	v_mul_lo_u32 v17, v12, s14
	v_mad_co_u64_u32 v[11:12], null, v11, s14, v[1:2]
	s_delay_alu instid0(VALU_DEP_1)
	v_add3_u32 v12, v17, v12, v16
	s_cbranch_execnz .LBB42_20
	s_branch .LBB42_24
.LBB42_23:                              ;   in Loop: Header=BB42_21 Depth=3
                                        ; implicit-def: $vgpr11_vgpr12
.LBB42_24:                              ;   in Loop: Header=BB42_21 Depth=3
	v_add_co_u32 v11, vcc_lo, v7, v9
	s_wait_alu 0xfffd
	v_add_co_ci_u32_e64 v12, null, v8, v10, vcc_lo
	s_branch .LBB42_20
.LBB42_25:                              ;   in Loop: Header=BB42_14 Depth=1
	s_wait_dscnt 0x0
	ds_bpermute_b32 v7, v13, v0
	s_wait_dscnt 0x0
	v_add_nc_u32_e32 v0, v7, v0
	ds_bpermute_b32 v7, v14, v0
	s_wait_dscnt 0x0
	v_add_nc_u32_e32 v0, v7, v0
	ds_bpermute_b32 v7, v15, v0
	s_and_saveexec_b32 s2, s1
	s_cbranch_execz .LBB42_13
; %bb.26:                               ;   in Loop: Header=BB42_14 Depth=1
	s_wait_dscnt 0x0
	v_add_nc_u32_e32 v0, v7, v0
	v_lshlrev_b64_e32 v[7:8], 2, v[1:2]
	s_and_not1_b32 vcc_lo, exec_lo, s33
	s_delay_alu instid0(VALU_DEP_2)
	v_mul_lo_u32 v0, v0, s28
	s_wait_alu 0xfffe
	s_cbranch_vccnz .LBB42_28
; %bb.27:                               ;   in Loop: Header=BB42_14 Depth=1
	s_delay_alu instid0(VALU_DEP_2)
	v_add_co_u32 v9, vcc_lo, s18, v7
	s_wait_alu 0xfffd
	v_add_co_ci_u32_e64 v10, null, s19, v8, vcc_lo
	global_load_b32 v11, v[9:10], off
	s_wait_loadcnt 0x0
	v_mad_co_u64_u32 v[11:12], null, v11, s29, v[0:1]
	global_store_b32 v[9:10], v11, off
	s_cbranch_execnz .LBB42_13
	s_branch .LBB42_29
.LBB42_28:                              ;   in Loop: Header=BB42_14 Depth=1
.LBB42_29:                              ;   in Loop: Header=BB42_14 Depth=1
	s_delay_alu instid0(VALU_DEP_2)
	v_add_co_u32 v7, vcc_lo, s18, v7
	s_wait_alu 0xfffd
	v_add_co_ci_u32_e64 v8, null, s19, v8, vcc_lo
	global_store_b32 v[7:8], v0, off
	s_branch .LBB42_13
.LBB42_30:
	s_endpgm
	.section	.rodata,"a",@progbits
	.p2align	6, 0x0
	.amdhsa_kernel _ZN9rocsparseL22bsrxmvn_general_kernelILj64ELj8EillaaiEEv20rocsparse_direction_NS_24const_host_device_scalarIT1_EET3_PKS5_PKT2_SA_S7_PKT4_S5_PKT5_S4_PT6_21rocsparse_index_base_b
		.amdhsa_group_segment_fixed_size 0
		.amdhsa_private_segment_fixed_size 0
		.amdhsa_kernarg_size 104
		.amdhsa_user_sgpr_count 2
		.amdhsa_user_sgpr_dispatch_ptr 0
		.amdhsa_user_sgpr_queue_ptr 0
		.amdhsa_user_sgpr_kernarg_segment_ptr 1
		.amdhsa_user_sgpr_dispatch_id 0
		.amdhsa_user_sgpr_private_segment_size 0
		.amdhsa_wavefront_size32 1
		.amdhsa_uses_dynamic_stack 0
		.amdhsa_enable_private_segment 0
		.amdhsa_system_sgpr_workgroup_id_x 1
		.amdhsa_system_sgpr_workgroup_id_y 0
		.amdhsa_system_sgpr_workgroup_id_z 0
		.amdhsa_system_sgpr_workgroup_info 0
		.amdhsa_system_vgpr_workitem_id 0
		.amdhsa_next_free_vgpr 18
		.amdhsa_next_free_sgpr 37
		.amdhsa_reserve_vcc 1
		.amdhsa_float_round_mode_32 0
		.amdhsa_float_round_mode_16_64 0
		.amdhsa_float_denorm_mode_32 3
		.amdhsa_float_denorm_mode_16_64 3
		.amdhsa_fp16_overflow 0
		.amdhsa_workgroup_processor_mode 1
		.amdhsa_memory_ordered 1
		.amdhsa_forward_progress 1
		.amdhsa_inst_pref_size 10
		.amdhsa_round_robin_scheduling 0
		.amdhsa_exception_fp_ieee_invalid_op 0
		.amdhsa_exception_fp_denorm_src 0
		.amdhsa_exception_fp_ieee_div_zero 0
		.amdhsa_exception_fp_ieee_overflow 0
		.amdhsa_exception_fp_ieee_underflow 0
		.amdhsa_exception_fp_ieee_inexact 0
		.amdhsa_exception_int_div_zero 0
	.end_amdhsa_kernel
	.section	.text._ZN9rocsparseL22bsrxmvn_general_kernelILj64ELj8EillaaiEEv20rocsparse_direction_NS_24const_host_device_scalarIT1_EET3_PKS5_PKT2_SA_S7_PKT4_S5_PKT5_S4_PT6_21rocsparse_index_base_b,"axG",@progbits,_ZN9rocsparseL22bsrxmvn_general_kernelILj64ELj8EillaaiEEv20rocsparse_direction_NS_24const_host_device_scalarIT1_EET3_PKS5_PKT2_SA_S7_PKT4_S5_PKT5_S4_PT6_21rocsparse_index_base_b,comdat
.Lfunc_end42:
	.size	_ZN9rocsparseL22bsrxmvn_general_kernelILj64ELj8EillaaiEEv20rocsparse_direction_NS_24const_host_device_scalarIT1_EET3_PKS5_PKT2_SA_S7_PKT4_S5_PKT5_S4_PT6_21rocsparse_index_base_b, .Lfunc_end42-_ZN9rocsparseL22bsrxmvn_general_kernelILj64ELj8EillaaiEEv20rocsparse_direction_NS_24const_host_device_scalarIT1_EET3_PKS5_PKT2_SA_S7_PKT4_S5_PKT5_S4_PT6_21rocsparse_index_base_b
                                        ; -- End function
	.set _ZN9rocsparseL22bsrxmvn_general_kernelILj64ELj8EillaaiEEv20rocsparse_direction_NS_24const_host_device_scalarIT1_EET3_PKS5_PKT2_SA_S7_PKT4_S5_PKT5_S4_PT6_21rocsparse_index_base_b.num_vgpr, 18
	.set _ZN9rocsparseL22bsrxmvn_general_kernelILj64ELj8EillaaiEEv20rocsparse_direction_NS_24const_host_device_scalarIT1_EET3_PKS5_PKT2_SA_S7_PKT4_S5_PKT5_S4_PT6_21rocsparse_index_base_b.num_agpr, 0
	.set _ZN9rocsparseL22bsrxmvn_general_kernelILj64ELj8EillaaiEEv20rocsparse_direction_NS_24const_host_device_scalarIT1_EET3_PKS5_PKT2_SA_S7_PKT4_S5_PKT5_S4_PT6_21rocsparse_index_base_b.numbered_sgpr, 37
	.set _ZN9rocsparseL22bsrxmvn_general_kernelILj64ELj8EillaaiEEv20rocsparse_direction_NS_24const_host_device_scalarIT1_EET3_PKS5_PKT2_SA_S7_PKT4_S5_PKT5_S4_PT6_21rocsparse_index_base_b.num_named_barrier, 0
	.set _ZN9rocsparseL22bsrxmvn_general_kernelILj64ELj8EillaaiEEv20rocsparse_direction_NS_24const_host_device_scalarIT1_EET3_PKS5_PKT2_SA_S7_PKT4_S5_PKT5_S4_PT6_21rocsparse_index_base_b.private_seg_size, 0
	.set _ZN9rocsparseL22bsrxmvn_general_kernelILj64ELj8EillaaiEEv20rocsparse_direction_NS_24const_host_device_scalarIT1_EET3_PKS5_PKT2_SA_S7_PKT4_S5_PKT5_S4_PT6_21rocsparse_index_base_b.uses_vcc, 1
	.set _ZN9rocsparseL22bsrxmvn_general_kernelILj64ELj8EillaaiEEv20rocsparse_direction_NS_24const_host_device_scalarIT1_EET3_PKS5_PKT2_SA_S7_PKT4_S5_PKT5_S4_PT6_21rocsparse_index_base_b.uses_flat_scratch, 0
	.set _ZN9rocsparseL22bsrxmvn_general_kernelILj64ELj8EillaaiEEv20rocsparse_direction_NS_24const_host_device_scalarIT1_EET3_PKS5_PKT2_SA_S7_PKT4_S5_PKT5_S4_PT6_21rocsparse_index_base_b.has_dyn_sized_stack, 0
	.set _ZN9rocsparseL22bsrxmvn_general_kernelILj64ELj8EillaaiEEv20rocsparse_direction_NS_24const_host_device_scalarIT1_EET3_PKS5_PKT2_SA_S7_PKT4_S5_PKT5_S4_PT6_21rocsparse_index_base_b.has_recursion, 0
	.set _ZN9rocsparseL22bsrxmvn_general_kernelILj64ELj8EillaaiEEv20rocsparse_direction_NS_24const_host_device_scalarIT1_EET3_PKS5_PKT2_SA_S7_PKT4_S5_PKT5_S4_PT6_21rocsparse_index_base_b.has_indirect_call, 0
	.section	.AMDGPU.csdata,"",@progbits
; Kernel info:
; codeLenInByte = 1256
; TotalNumSgprs: 39
; NumVgprs: 18
; ScratchSize: 0
; MemoryBound: 0
; FloatMode: 240
; IeeeMode: 1
; LDSByteSize: 0 bytes/workgroup (compile time only)
; SGPRBlocks: 0
; VGPRBlocks: 2
; NumSGPRsForWavesPerEU: 39
; NumVGPRsForWavesPerEU: 18
; Occupancy: 16
; WaveLimiterHint : 1
; COMPUTE_PGM_RSRC2:SCRATCH_EN: 0
; COMPUTE_PGM_RSRC2:USER_SGPR: 2
; COMPUTE_PGM_RSRC2:TRAP_HANDLER: 0
; COMPUTE_PGM_RSRC2:TGID_X_EN: 1
; COMPUTE_PGM_RSRC2:TGID_Y_EN: 0
; COMPUTE_PGM_RSRC2:TGID_Z_EN: 0
; COMPUTE_PGM_RSRC2:TIDIG_COMP_CNT: 0
	.section	.text._ZN9rocsparseL22bsrxmvn_general_kernelILj256ELj16EillaaiEEv20rocsparse_direction_NS_24const_host_device_scalarIT1_EET3_PKS5_PKT2_SA_S7_PKT4_S5_PKT5_S4_PT6_21rocsparse_index_base_b,"axG",@progbits,_ZN9rocsparseL22bsrxmvn_general_kernelILj256ELj16EillaaiEEv20rocsparse_direction_NS_24const_host_device_scalarIT1_EET3_PKS5_PKT2_SA_S7_PKT4_S5_PKT5_S4_PT6_21rocsparse_index_base_b,comdat
	.globl	_ZN9rocsparseL22bsrxmvn_general_kernelILj256ELj16EillaaiEEv20rocsparse_direction_NS_24const_host_device_scalarIT1_EET3_PKS5_PKT2_SA_S7_PKT4_S5_PKT5_S4_PT6_21rocsparse_index_base_b ; -- Begin function _ZN9rocsparseL22bsrxmvn_general_kernelILj256ELj16EillaaiEEv20rocsparse_direction_NS_24const_host_device_scalarIT1_EET3_PKS5_PKT2_SA_S7_PKT4_S5_PKT5_S4_PT6_21rocsparse_index_base_b
	.p2align	8
	.type	_ZN9rocsparseL22bsrxmvn_general_kernelILj256ELj16EillaaiEEv20rocsparse_direction_NS_24const_host_device_scalarIT1_EET3_PKS5_PKT2_SA_S7_PKT4_S5_PKT5_S4_PT6_21rocsparse_index_base_b,@function
_ZN9rocsparseL22bsrxmvn_general_kernelILj256ELj16EillaaiEEv20rocsparse_direction_NS_24const_host_device_scalarIT1_EET3_PKS5_PKT2_SA_S7_PKT4_S5_PKT5_S4_PT6_21rocsparse_index_base_b: ; @_ZN9rocsparseL22bsrxmvn_general_kernelILj256ELj16EillaaiEEv20rocsparse_direction_NS_24const_host_device_scalarIT1_EET3_PKS5_PKT2_SA_S7_PKT4_S5_PKT5_S4_PT6_21rocsparse_index_base_b
; %bb.0:
	s_clause 0x1
	s_load_b64 s[12:13], s[0:1], 0x60
	s_load_b64 s[4:5], s[0:1], 0x8
	s_mov_b32 s7, -1
                                        ; implicit-def: $sgpr28
	s_wait_kmcnt 0x0
	s_bitcmp1_b32 s13, 0
	s_cselect_b32 s2, -1, 0
	s_delay_alu instid0(SALU_CYCLE_1) | instskip(NEXT) | instid1(SALU_CYCLE_1)
	s_xor_b32 s6, s2, -1
	s_and_b32 vcc_lo, exec_lo, s6
	s_cbranch_vccnz .LBB43_4
; %bb.1:
	s_load_b64 s[2:3], s[0:1], 0x50
	s_and_not1_b32 vcc_lo, exec_lo, s7
	s_cbranch_vccz .LBB43_5
.LBB43_2:
	s_and_b32 vcc_lo, exec_lo, s6
	s_cbranch_vccz .LBB43_6
.LBB43_3:
	s_wait_kmcnt 0x0
	s_load_b32 s29, s[2:3], 0x0
	s_cbranch_execz .LBB43_7
	s_branch .LBB43_8
.LBB43_4:
	s_load_b32 s28, s[4:5], 0x0
	s_load_b64 s[2:3], s[0:1], 0x50
	s_cbranch_execnz .LBB43_2
.LBB43_5:
	s_wait_kmcnt 0x0
	s_mov_b32 s28, s4
	s_and_b32 vcc_lo, exec_lo, s6
	s_cbranch_vccnz .LBB43_3
.LBB43_6:
	s_wait_kmcnt 0x0
                                        ; implicit-def: $sgpr29
.LBB43_7:
	s_wait_kmcnt 0x0
	s_mov_b32 s29, s2
.LBB43_8:
	s_cmp_lg_u32 s28, 0
	s_cselect_b32 s2, -1, 0
	s_wait_kmcnt 0x0
	s_cmp_lg_u32 s29, 1
	s_cselect_b32 s3, -1, 0
	s_delay_alu instid0(SALU_CYCLE_1)
	s_or_b32 s2, s2, s3
	s_mov_b32 s3, 0
	s_and_not1_b32 vcc_lo, exec_lo, s2
	s_cbranch_vccnz .LBB43_30
; %bb.9:
	s_load_b64 s[4:5], s[0:1], 0x18
	s_mov_b32 s2, ttmp9
	s_mov_b32 s13, s3
	s_wait_kmcnt 0x0
	s_cmp_eq_u64 s[4:5], 0
	s_cbranch_scc1 .LBB43_11
; %bb.10:
	s_lshl_b64 s[2:3], s[2:3], 3
	s_delay_alu instid0(SALU_CYCLE_1)
	s_add_nc_u64 s[2:3], s[4:5], s[2:3]
	s_load_b64 s[2:3], s[2:3], 0x0
	s_wait_kmcnt 0x0
	s_sub_nc_u64 s[2:3], s[2:3], s[12:13]
.LBB43_11:
	s_load_b64 s[14:15], s[0:1], 0x40
	v_lshrrev_b32_e32 v1, 4, v0
	v_mov_b32_e32 v2, 0
	s_mov_b32 s4, exec_lo
	s_wait_kmcnt 0x0
	s_delay_alu instid0(VALU_DEP_1)
	v_cmpx_gt_i64_e64 s[14:15], v[1:2]
	s_cbranch_execz .LBB43_30
; %bb.12:
	s_clause 0x2
	s_load_b256 s[4:11], s[0:1], 0x20
	s_load_b64 s[18:19], s[0:1], 0x58
	s_load_b64 s[16:17], s[0:1], 0x48
	v_dual_mov_b32 v4, v2 :: v_dual_and_b32 v3, 15, v0
	v_mbcnt_lo_u32_b32 v0, -1, 0
	s_lshl_b64 s[20:21], s[2:3], 3
	s_load_b32 s24, s[0:1], 0x0
	s_mul_u64 s[2:3], s[2:3], s[14:15]
	v_cmp_gt_u64_e64 s0, s[14:15], v[3:4]
	v_xor_b32_e32 v5, 8, v0
	v_xor_b32_e32 v6, 4, v0
	;; [unrolled: 1-line block ×4, first 2 shown]
	v_cmp_eq_u32_e64 s1, 15, v3
	v_cmp_gt_i32_e32 vcc_lo, 32, v5
	s_mov_b32 s30, 0
	v_cndmask_b32_e32 v9, v0, v5, vcc_lo
	s_wait_kmcnt 0x0
	s_add_nc_u64 s[4:5], s[4:5], s[20:21]
	v_cmp_gt_i32_e32 vcc_lo, 32, v6
	s_load_b64 s[22:23], s[4:5], 0x0
	s_add_nc_u64 s[20:21], s[6:7], s[20:21]
	s_cmp_eq_u64 s[6:7], 0
	s_add_nc_u64 s[4:5], s[4:5], 8
	v_cndmask_b32_e32 v10, v0, v6, vcc_lo
	v_cmp_gt_i32_e32 vcc_lo, 32, v7
	s_cselect_b32 s5, s5, s21
	s_cselect_b32 s4, s4, s20
	s_cmp_lg_u32 s24, 0
	s_load_b64 s[20:21], s[4:5], 0x0
	v_cndmask_b32_e32 v7, v0, v7, vcc_lo
	v_cmp_gt_i32_e32 vcc_lo, 32, v8
	s_cselect_b32 s31, -1, 0
	s_cmp_lg_u32 s29, 0
	v_lshlrev_b32_e32 v14, 2, v10
	s_wait_alu 0xfffd
	v_dual_cndmask_b32 v0, v0, v8 :: v_dual_lshlrev_b32 v13, 2, v9
	s_cselect_b32 s33, -1, 0
	s_lshl_b64 s[2:3], s[2:3], 2
	s_wait_kmcnt 0x0
	s_sub_nc_u64 s[4:5], s[22:23], s[12:13]
	v_lshlrev_b32_e32 v16, 2, v0
	v_mad_co_u64_u32 v[5:6], null, s14, s4, v[1:2]
	s_mul_i32 s6, s15, s4
	s_mul_i32 s7, s14, s5
	v_lshlrev_b32_e32 v15, 2, v7
	s_add_nc_u64 s[18:19], s[18:19], s[2:3]
	v_cmp_lt_i64_e64 s34, s[22:23], s[20:21]
	v_add3_u32 v7, s7, s6, v6
	v_mul_lo_u32 v8, s15, v5
	v_mad_co_u64_u32 v[5:6], null, s14, v5, 0
	s_sub_nc_u64 s[6:7], s[20:21], s[12:13]
	v_mul_lo_u32 v7, s14, v7
	s_lshl_b64 s[20:21], s[14:15], 4
	s_mul_u64 s[22:23], s[14:15], s[14:15]
	s_delay_alu instid0(VALU_DEP_1)
	v_add3_u32 v6, v6, v7, v8
	s_branch .LBB43_14
.LBB43_13:                              ;   in Loop: Header=BB43_14 Depth=1
	s_wait_alu 0xfffe
	s_or_b32 exec_lo, exec_lo, s2
	v_add_co_u32 v1, vcc_lo, v1, 16
	s_wait_alu 0xfffd
	v_add_co_ci_u32_e64 v2, null, 0, v2, vcc_lo
	v_add_co_u32 v5, s2, v5, s20
	s_wait_alu 0xf1ff
	v_add_co_ci_u32_e64 v6, null, s21, v6, s2
	s_delay_alu instid0(VALU_DEP_3) | instskip(SKIP_1) | instid1(SALU_CYCLE_1)
	v_cmp_le_i64_e32 vcc_lo, s[14:15], v[1:2]
	s_or_b32 s30, vcc_lo, s30
	s_and_not1_b32 exec_lo, exec_lo, s30
	s_cbranch_execz .LBB43_30
.LBB43_14:                              ; =>This Loop Header: Depth=1
                                        ;     Child Loop BB43_18 Depth 2
                                        ;       Child Loop BB43_21 Depth 3
	v_mov_b32_e32 v0, 0
	s_and_not1_b32 vcc_lo, exec_lo, s34
	s_wait_alu 0xfffe
	s_cbranch_vccnz .LBB43_25
; %bb.15:                               ;   in Loop: Header=BB43_14 Depth=1
	s_wait_dscnt 0x0
	v_mov_b32_e32 v8, v6
	v_dual_mov_b32 v0, 0 :: v_dual_mov_b32 v7, v5
	s_mov_b64 s[2:3], s[4:5]
	s_branch .LBB43_18
.LBB43_16:                              ;   in Loop: Header=BB43_18 Depth=2
	s_or_b32 exec_lo, exec_lo, s36
.LBB43_17:                              ;   in Loop: Header=BB43_18 Depth=2
	s_delay_alu instid0(SALU_CYCLE_1)
	s_or_b32 exec_lo, exec_lo, s35
	s_wait_alu 0xfffe
	s_add_nc_u64 s[2:3], s[2:3], 1
	v_add_co_u32 v7, vcc_lo, v7, s22
	s_wait_alu 0xfffe
	v_cmp_ge_i64_e64 s24, s[2:3], s[6:7]
	s_wait_alu 0xfffd
	v_add_co_ci_u32_e64 v8, null, s23, v8, vcc_lo
	s_and_b32 vcc_lo, exec_lo, s24
	s_wait_alu 0xfffe
	s_cbranch_vccnz .LBB43_25
.LBB43_18:                              ;   Parent Loop BB43_14 Depth=1
                                        ; =>  This Loop Header: Depth=2
                                        ;       Child Loop BB43_21 Depth 3
	s_and_saveexec_b32 s35, s0
	s_cbranch_execz .LBB43_17
; %bb.19:                               ;   in Loop: Header=BB43_18 Depth=2
	s_wait_alu 0xfffe
	s_lshl_b64 s[24:25], s[2:3], 3
	v_dual_mov_b32 v10, v4 :: v_dual_mov_b32 v9, v3
	s_wait_alu 0xfffe
	s_add_nc_u64 s[24:25], s[8:9], s[24:25]
	s_mov_b32 s36, 0
	s_load_b64 s[24:25], s[24:25], 0x0
	s_wait_kmcnt 0x0
	s_sub_nc_u64 s[24:25], s[24:25], s[12:13]
	s_wait_alu 0xfffe
	s_mul_u64 s[26:27], s[24:25], s[14:15]
	s_mul_u64 s[24:25], s[2:3], s[14:15]
	s_wait_alu 0xfffe
	s_add_nc_u64 s[26:27], s[16:17], s[26:27]
	s_branch .LBB43_21
.LBB43_20:                              ;   in Loop: Header=BB43_21 Depth=3
	s_delay_alu instid0(VALU_DEP_2) | instskip(SKIP_1) | instid1(VALU_DEP_2)
	v_add_co_u32 v11, vcc_lo, s10, v11
	s_wait_alu 0xfffd
	v_add_co_ci_u32_e64 v12, null, s11, v12, vcc_lo
	v_add_co_u32 v17, vcc_lo, s26, v9
	s_wait_alu 0xfffd
	v_add_co_ci_u32_e64 v18, null, s27, v10, vcc_lo
	global_load_i8 v11, v[11:12], off
	global_load_i8 v12, v[17:18], off
	v_add_co_u32 v9, vcc_lo, v9, 16
	s_wait_alu 0xfffd
	v_add_co_ci_u32_e64 v10, null, 0, v10, vcc_lo
	s_delay_alu instid0(VALU_DEP_1)
	v_cmp_le_i64_e32 vcc_lo, s[14:15], v[9:10]
	s_or_b32 s36, vcc_lo, s36
	s_wait_loadcnt 0x0
	v_mad_i32_i24 v0, v12, v11, v0
	s_and_not1_b32 exec_lo, exec_lo, s36
	s_cbranch_execz .LBB43_16
.LBB43_21:                              ;   Parent Loop BB43_14 Depth=1
                                        ;     Parent Loop BB43_18 Depth=2
                                        ; =>    This Inner Loop Header: Depth=3
	s_and_b32 vcc_lo, exec_lo, s31
	s_wait_alu 0xfffe
	s_cbranch_vccz .LBB43_23
; %bb.22:                               ;   in Loop: Header=BB43_21 Depth=3
	v_add_co_u32 v11, vcc_lo, v9, s24
	s_wait_alu 0xfffd
	v_add_co_ci_u32_e64 v12, null, s25, v10, vcc_lo
	s_delay_alu instid0(VALU_DEP_2) | instskip(NEXT) | instid1(VALU_DEP_2)
	v_mul_lo_u32 v17, v11, s15
	v_mul_lo_u32 v18, v12, s14
	v_mad_co_u64_u32 v[11:12], null, v11, s14, v[1:2]
	s_delay_alu instid0(VALU_DEP_1)
	v_add3_u32 v12, v18, v12, v17
	s_cbranch_execnz .LBB43_20
	s_branch .LBB43_24
.LBB43_23:                              ;   in Loop: Header=BB43_21 Depth=3
                                        ; implicit-def: $vgpr11_vgpr12
.LBB43_24:                              ;   in Loop: Header=BB43_21 Depth=3
	v_add_co_u32 v11, vcc_lo, v7, v9
	s_wait_alu 0xfffd
	v_add_co_ci_u32_e64 v12, null, v8, v10, vcc_lo
	s_branch .LBB43_20
.LBB43_25:                              ;   in Loop: Header=BB43_14 Depth=1
	s_wait_dscnt 0x0
	ds_bpermute_b32 v7, v13, v0
	s_wait_dscnt 0x0
	v_add_nc_u32_e32 v0, v7, v0
	ds_bpermute_b32 v7, v14, v0
	s_wait_dscnt 0x0
	v_add_nc_u32_e32 v0, v7, v0
	;; [unrolled: 3-line block ×3, first 2 shown]
	ds_bpermute_b32 v7, v16, v0
	s_and_saveexec_b32 s2, s1
	s_cbranch_execz .LBB43_13
; %bb.26:                               ;   in Loop: Header=BB43_14 Depth=1
	s_wait_dscnt 0x0
	v_add_nc_u32_e32 v0, v7, v0
	v_lshlrev_b64_e32 v[7:8], 2, v[1:2]
	s_and_not1_b32 vcc_lo, exec_lo, s33
	s_delay_alu instid0(VALU_DEP_2)
	v_mul_lo_u32 v0, v0, s28
	s_wait_alu 0xfffe
	s_cbranch_vccnz .LBB43_28
; %bb.27:                               ;   in Loop: Header=BB43_14 Depth=1
	s_delay_alu instid0(VALU_DEP_2)
	v_add_co_u32 v9, vcc_lo, s18, v7
	s_wait_alu 0xfffd
	v_add_co_ci_u32_e64 v10, null, s19, v8, vcc_lo
	global_load_b32 v11, v[9:10], off
	s_wait_loadcnt 0x0
	v_mad_co_u64_u32 v[11:12], null, v11, s29, v[0:1]
	global_store_b32 v[9:10], v11, off
	s_cbranch_execnz .LBB43_13
	s_branch .LBB43_29
.LBB43_28:                              ;   in Loop: Header=BB43_14 Depth=1
.LBB43_29:                              ;   in Loop: Header=BB43_14 Depth=1
	s_delay_alu instid0(VALU_DEP_2)
	v_add_co_u32 v7, vcc_lo, s18, v7
	s_wait_alu 0xfffd
	v_add_co_ci_u32_e64 v8, null, s19, v8, vcc_lo
	global_store_b32 v[7:8], v0, off
	s_branch .LBB43_13
.LBB43_30:
	s_endpgm
	.section	.rodata,"a",@progbits
	.p2align	6, 0x0
	.amdhsa_kernel _ZN9rocsparseL22bsrxmvn_general_kernelILj256ELj16EillaaiEEv20rocsparse_direction_NS_24const_host_device_scalarIT1_EET3_PKS5_PKT2_SA_S7_PKT4_S5_PKT5_S4_PT6_21rocsparse_index_base_b
		.amdhsa_group_segment_fixed_size 0
		.amdhsa_private_segment_fixed_size 0
		.amdhsa_kernarg_size 104
		.amdhsa_user_sgpr_count 2
		.amdhsa_user_sgpr_dispatch_ptr 0
		.amdhsa_user_sgpr_queue_ptr 0
		.amdhsa_user_sgpr_kernarg_segment_ptr 1
		.amdhsa_user_sgpr_dispatch_id 0
		.amdhsa_user_sgpr_private_segment_size 0
		.amdhsa_wavefront_size32 1
		.amdhsa_uses_dynamic_stack 0
		.amdhsa_enable_private_segment 0
		.amdhsa_system_sgpr_workgroup_id_x 1
		.amdhsa_system_sgpr_workgroup_id_y 0
		.amdhsa_system_sgpr_workgroup_id_z 0
		.amdhsa_system_sgpr_workgroup_info 0
		.amdhsa_system_vgpr_workitem_id 0
		.amdhsa_next_free_vgpr 19
		.amdhsa_next_free_sgpr 37
		.amdhsa_reserve_vcc 1
		.amdhsa_float_round_mode_32 0
		.amdhsa_float_round_mode_16_64 0
		.amdhsa_float_denorm_mode_32 3
		.amdhsa_float_denorm_mode_16_64 3
		.amdhsa_fp16_overflow 0
		.amdhsa_workgroup_processor_mode 1
		.amdhsa_memory_ordered 1
		.amdhsa_forward_progress 1
		.amdhsa_inst_pref_size 10
		.amdhsa_round_robin_scheduling 0
		.amdhsa_exception_fp_ieee_invalid_op 0
		.amdhsa_exception_fp_denorm_src 0
		.amdhsa_exception_fp_ieee_div_zero 0
		.amdhsa_exception_fp_ieee_overflow 0
		.amdhsa_exception_fp_ieee_underflow 0
		.amdhsa_exception_fp_ieee_inexact 0
		.amdhsa_exception_int_div_zero 0
	.end_amdhsa_kernel
	.section	.text._ZN9rocsparseL22bsrxmvn_general_kernelILj256ELj16EillaaiEEv20rocsparse_direction_NS_24const_host_device_scalarIT1_EET3_PKS5_PKT2_SA_S7_PKT4_S5_PKT5_S4_PT6_21rocsparse_index_base_b,"axG",@progbits,_ZN9rocsparseL22bsrxmvn_general_kernelILj256ELj16EillaaiEEv20rocsparse_direction_NS_24const_host_device_scalarIT1_EET3_PKS5_PKT2_SA_S7_PKT4_S5_PKT5_S4_PT6_21rocsparse_index_base_b,comdat
.Lfunc_end43:
	.size	_ZN9rocsparseL22bsrxmvn_general_kernelILj256ELj16EillaaiEEv20rocsparse_direction_NS_24const_host_device_scalarIT1_EET3_PKS5_PKT2_SA_S7_PKT4_S5_PKT5_S4_PT6_21rocsparse_index_base_b, .Lfunc_end43-_ZN9rocsparseL22bsrxmvn_general_kernelILj256ELj16EillaaiEEv20rocsparse_direction_NS_24const_host_device_scalarIT1_EET3_PKS5_PKT2_SA_S7_PKT4_S5_PKT5_S4_PT6_21rocsparse_index_base_b
                                        ; -- End function
	.set _ZN9rocsparseL22bsrxmvn_general_kernelILj256ELj16EillaaiEEv20rocsparse_direction_NS_24const_host_device_scalarIT1_EET3_PKS5_PKT2_SA_S7_PKT4_S5_PKT5_S4_PT6_21rocsparse_index_base_b.num_vgpr, 19
	.set _ZN9rocsparseL22bsrxmvn_general_kernelILj256ELj16EillaaiEEv20rocsparse_direction_NS_24const_host_device_scalarIT1_EET3_PKS5_PKT2_SA_S7_PKT4_S5_PKT5_S4_PT6_21rocsparse_index_base_b.num_agpr, 0
	.set _ZN9rocsparseL22bsrxmvn_general_kernelILj256ELj16EillaaiEEv20rocsparse_direction_NS_24const_host_device_scalarIT1_EET3_PKS5_PKT2_SA_S7_PKT4_S5_PKT5_S4_PT6_21rocsparse_index_base_b.numbered_sgpr, 37
	.set _ZN9rocsparseL22bsrxmvn_general_kernelILj256ELj16EillaaiEEv20rocsparse_direction_NS_24const_host_device_scalarIT1_EET3_PKS5_PKT2_SA_S7_PKT4_S5_PKT5_S4_PT6_21rocsparse_index_base_b.num_named_barrier, 0
	.set _ZN9rocsparseL22bsrxmvn_general_kernelILj256ELj16EillaaiEEv20rocsparse_direction_NS_24const_host_device_scalarIT1_EET3_PKS5_PKT2_SA_S7_PKT4_S5_PKT5_S4_PT6_21rocsparse_index_base_b.private_seg_size, 0
	.set _ZN9rocsparseL22bsrxmvn_general_kernelILj256ELj16EillaaiEEv20rocsparse_direction_NS_24const_host_device_scalarIT1_EET3_PKS5_PKT2_SA_S7_PKT4_S5_PKT5_S4_PT6_21rocsparse_index_base_b.uses_vcc, 1
	.set _ZN9rocsparseL22bsrxmvn_general_kernelILj256ELj16EillaaiEEv20rocsparse_direction_NS_24const_host_device_scalarIT1_EET3_PKS5_PKT2_SA_S7_PKT4_S5_PKT5_S4_PT6_21rocsparse_index_base_b.uses_flat_scratch, 0
	.set _ZN9rocsparseL22bsrxmvn_general_kernelILj256ELj16EillaaiEEv20rocsparse_direction_NS_24const_host_device_scalarIT1_EET3_PKS5_PKT2_SA_S7_PKT4_S5_PKT5_S4_PT6_21rocsparse_index_base_b.has_dyn_sized_stack, 0
	.set _ZN9rocsparseL22bsrxmvn_general_kernelILj256ELj16EillaaiEEv20rocsparse_direction_NS_24const_host_device_scalarIT1_EET3_PKS5_PKT2_SA_S7_PKT4_S5_PKT5_S4_PT6_21rocsparse_index_base_b.has_recursion, 0
	.set _ZN9rocsparseL22bsrxmvn_general_kernelILj256ELj16EillaaiEEv20rocsparse_direction_NS_24const_host_device_scalarIT1_EET3_PKS5_PKT2_SA_S7_PKT4_S5_PKT5_S4_PT6_21rocsparse_index_base_b.has_indirect_call, 0
	.section	.AMDGPU.csdata,"",@progbits
; Kernel info:
; codeLenInByte = 1276
; TotalNumSgprs: 39
; NumVgprs: 19
; ScratchSize: 0
; MemoryBound: 0
; FloatMode: 240
; IeeeMode: 1
; LDSByteSize: 0 bytes/workgroup (compile time only)
; SGPRBlocks: 0
; VGPRBlocks: 2
; NumSGPRsForWavesPerEU: 39
; NumVGPRsForWavesPerEU: 19
; Occupancy: 16
; WaveLimiterHint : 1
; COMPUTE_PGM_RSRC2:SCRATCH_EN: 0
; COMPUTE_PGM_RSRC2:USER_SGPR: 2
; COMPUTE_PGM_RSRC2:TRAP_HANDLER: 0
; COMPUTE_PGM_RSRC2:TGID_X_EN: 1
; COMPUTE_PGM_RSRC2:TGID_Y_EN: 0
; COMPUTE_PGM_RSRC2:TGID_Z_EN: 0
; COMPUTE_PGM_RSRC2:TIDIG_COMP_CNT: 0
	.section	.text._ZN9rocsparseL22bsrxmvn_general_kernelILj1024ELj32EillaaiEEv20rocsparse_direction_NS_24const_host_device_scalarIT1_EET3_PKS5_PKT2_SA_S7_PKT4_S5_PKT5_S4_PT6_21rocsparse_index_base_b,"axG",@progbits,_ZN9rocsparseL22bsrxmvn_general_kernelILj1024ELj32EillaaiEEv20rocsparse_direction_NS_24const_host_device_scalarIT1_EET3_PKS5_PKT2_SA_S7_PKT4_S5_PKT5_S4_PT6_21rocsparse_index_base_b,comdat
	.globl	_ZN9rocsparseL22bsrxmvn_general_kernelILj1024ELj32EillaaiEEv20rocsparse_direction_NS_24const_host_device_scalarIT1_EET3_PKS5_PKT2_SA_S7_PKT4_S5_PKT5_S4_PT6_21rocsparse_index_base_b ; -- Begin function _ZN9rocsparseL22bsrxmvn_general_kernelILj1024ELj32EillaaiEEv20rocsparse_direction_NS_24const_host_device_scalarIT1_EET3_PKS5_PKT2_SA_S7_PKT4_S5_PKT5_S4_PT6_21rocsparse_index_base_b
	.p2align	8
	.type	_ZN9rocsparseL22bsrxmvn_general_kernelILj1024ELj32EillaaiEEv20rocsparse_direction_NS_24const_host_device_scalarIT1_EET3_PKS5_PKT2_SA_S7_PKT4_S5_PKT5_S4_PT6_21rocsparse_index_base_b,@function
_ZN9rocsparseL22bsrxmvn_general_kernelILj1024ELj32EillaaiEEv20rocsparse_direction_NS_24const_host_device_scalarIT1_EET3_PKS5_PKT2_SA_S7_PKT4_S5_PKT5_S4_PT6_21rocsparse_index_base_b: ; @_ZN9rocsparseL22bsrxmvn_general_kernelILj1024ELj32EillaaiEEv20rocsparse_direction_NS_24const_host_device_scalarIT1_EET3_PKS5_PKT2_SA_S7_PKT4_S5_PKT5_S4_PT6_21rocsparse_index_base_b
; %bb.0:
	s_clause 0x1
	s_load_b64 s[12:13], s[0:1], 0x60
	s_load_b64 s[4:5], s[0:1], 0x8
	s_mov_b32 s7, -1
                                        ; implicit-def: $sgpr28
	s_wait_kmcnt 0x0
	s_bitcmp1_b32 s13, 0
	s_cselect_b32 s2, -1, 0
	s_delay_alu instid0(SALU_CYCLE_1) | instskip(NEXT) | instid1(SALU_CYCLE_1)
	s_xor_b32 s6, s2, -1
	s_and_b32 vcc_lo, exec_lo, s6
	s_cbranch_vccnz .LBB44_4
; %bb.1:
	s_load_b64 s[2:3], s[0:1], 0x50
	s_and_not1_b32 vcc_lo, exec_lo, s7
	s_cbranch_vccz .LBB44_5
.LBB44_2:
	s_and_b32 vcc_lo, exec_lo, s6
	s_cbranch_vccz .LBB44_6
.LBB44_3:
	s_wait_kmcnt 0x0
	s_load_b32 s29, s[2:3], 0x0
	s_cbranch_execz .LBB44_7
	s_branch .LBB44_8
.LBB44_4:
	s_load_b32 s28, s[4:5], 0x0
	s_load_b64 s[2:3], s[0:1], 0x50
	s_cbranch_execnz .LBB44_2
.LBB44_5:
	s_wait_kmcnt 0x0
	s_mov_b32 s28, s4
	s_and_b32 vcc_lo, exec_lo, s6
	s_cbranch_vccnz .LBB44_3
.LBB44_6:
	s_wait_kmcnt 0x0
                                        ; implicit-def: $sgpr29
.LBB44_7:
	s_wait_kmcnt 0x0
	s_mov_b32 s29, s2
.LBB44_8:
	s_cmp_lg_u32 s28, 0
	s_mov_b32 s19, 0
	s_cselect_b32 s2, -1, 0
	s_wait_kmcnt 0x0
	s_cmp_lg_u32 s29, 1
	s_cselect_b32 s3, -1, 0
	s_delay_alu instid0(SALU_CYCLE_1) | instskip(NEXT) | instid1(SALU_CYCLE_1)
	s_or_b32 s2, s2, s3
	s_and_not1_b32 vcc_lo, exec_lo, s2
	s_cbranch_vccnz .LBB44_30
; %bb.9:
	s_load_b64 s[2:3], s[0:1], 0x18
	s_mov_b32 s18, ttmp9
	s_mov_b32 s13, s19
	s_wait_kmcnt 0x0
	s_cmp_eq_u64 s[2:3], 0
	s_cbranch_scc1 .LBB44_11
; %bb.10:
	s_lshl_b64 s[4:5], s[18:19], 3
	s_delay_alu instid0(SALU_CYCLE_1)
	s_add_nc_u64 s[2:3], s[2:3], s[4:5]
	s_load_b64 s[2:3], s[2:3], 0x0
	s_wait_kmcnt 0x0
	s_sub_nc_u64 s[18:19], s[2:3], s[12:13]
.LBB44_11:
	s_load_b64 s[14:15], s[0:1], 0x40
	v_lshrrev_b32_e32 v1, 5, v0
	v_mov_b32_e32 v2, 0
	s_mov_b32 s2, exec_lo
	s_wait_kmcnt 0x0
	s_delay_alu instid0(VALU_DEP_1)
	v_cmpx_gt_i64_e64 s[14:15], v[1:2]
	s_cbranch_execz .LBB44_30
; %bb.12:
	s_clause 0x2
	s_load_b256 s[4:11], s[0:1], 0x20
	s_load_b64 s[2:3], s[0:1], 0x58
	s_load_b64 s[16:17], s[0:1], 0x48
	s_lshl_b64 s[20:21], s[18:19], 3
	v_dual_mov_b32 v4, v2 :: v_dual_and_b32 v3, 31, v0
	v_mbcnt_lo_u32_b32 v0, -1, 0
	s_load_b32 s24, s[0:1], 0x0
	s_mul_u64 s[18:19], s[18:19], s[14:15]
	s_delay_alu instid0(VALU_DEP_2)
	v_cmp_eq_u32_e64 s1, 31, v3
	v_cmp_gt_u64_e64 s0, s[14:15], v[3:4]
	v_xor_b32_e32 v5, 16, v0
	v_xor_b32_e32 v6, 8, v0
	;; [unrolled: 1-line block ×5, first 2 shown]
	v_cmp_gt_i32_e32 vcc_lo, 32, v5
	s_mov_b32 s30, 0
	s_wait_kmcnt 0x0
	s_add_nc_u64 s[4:5], s[4:5], s[20:21]
	v_cndmask_b32_e32 v10, v0, v5, vcc_lo
	s_load_b64 s[22:23], s[4:5], 0x0
	v_cmp_gt_i32_e32 vcc_lo, 32, v6
	s_add_nc_u64 s[20:21], s[6:7], s[20:21]
	s_cmp_eq_u64 s[6:7], 0
	s_add_nc_u64 s[4:5], s[4:5], 8
	s_delay_alu instid0(SALU_CYCLE_1)
	s_cselect_b32 s5, s5, s21
	s_cselect_b32 s4, s4, s20
	s_wait_alu 0xfffd
	v_cndmask_b32_e32 v11, v0, v6, vcc_lo
	v_cmp_gt_i32_e32 vcc_lo, 32, v7
	s_load_b64 s[20:21], s[4:5], 0x0
	s_cmp_lg_u32 s24, 0
	s_cselect_b32 s31, -1, 0
	v_cndmask_b32_e32 v7, v0, v7, vcc_lo
	v_cmp_gt_i32_e32 vcc_lo, 32, v8
	s_cmp_lg_u32 s29, 0
	s_cselect_b32 s33, -1, 0
	s_delay_alu instid0(VALU_DEP_2)
	v_lshlrev_b32_e32 v15, 2, v7
	s_wait_kmcnt 0x0
	s_sub_nc_u64 s[4:5], s[22:23], s[12:13]
	s_wait_alu 0xfffd
	v_dual_cndmask_b32 v8, v0, v8 :: v_dual_lshlrev_b32 v13, 2, v10
	v_mad_co_u64_u32 v[5:6], null, s14, s4, v[1:2]
	s_mul_i32 s6, s15, s4
	s_mul_i32 s7, s14, s5
	v_cmp_gt_i32_e32 vcc_lo, 32, v9
	v_lshlrev_b32_e32 v16, 2, v8
	v_lshlrev_b32_e32 v14, 2, v11
	v_cmp_lt_i64_e64 s34, s[22:23], s[20:21]
	v_add3_u32 v7, s7, s6, v6
	v_mul_lo_u32 v8, s15, v5
	v_mad_co_u64_u32 v[5:6], null, s14, v5, 0
	s_wait_alu 0xfffd
	v_cndmask_b32_e32 v0, v0, v9, vcc_lo
	v_mul_lo_u32 v7, s14, v7
	s_lshl_b64 s[18:19], s[18:19], 2
	s_sub_nc_u64 s[6:7], s[20:21], s[12:13]
	s_add_nc_u64 s[18:19], s[2:3], s[18:19]
	v_lshlrev_b32_e32 v17, 2, v0
	s_lshl_b64 s[20:21], s[14:15], 5
	s_mul_u64 s[22:23], s[14:15], s[14:15]
	s_delay_alu instid0(VALU_DEP_2)
	v_add3_u32 v6, v6, v7, v8
	s_branch .LBB44_14
.LBB44_13:                              ;   in Loop: Header=BB44_14 Depth=1
	s_wait_alu 0xfffe
	s_or_b32 exec_lo, exec_lo, s2
	v_add_co_u32 v1, vcc_lo, v1, 32
	s_wait_alu 0xfffd
	v_add_co_ci_u32_e64 v2, null, 0, v2, vcc_lo
	v_add_co_u32 v5, s2, v5, s20
	s_wait_alu 0xf1ff
	v_add_co_ci_u32_e64 v6, null, s21, v6, s2
	s_delay_alu instid0(VALU_DEP_3) | instskip(SKIP_1) | instid1(SALU_CYCLE_1)
	v_cmp_le_i64_e32 vcc_lo, s[14:15], v[1:2]
	s_or_b32 s30, vcc_lo, s30
	s_and_not1_b32 exec_lo, exec_lo, s30
	s_cbranch_execz .LBB44_30
.LBB44_14:                              ; =>This Loop Header: Depth=1
                                        ;     Child Loop BB44_18 Depth 2
                                        ;       Child Loop BB44_21 Depth 3
	v_mov_b32_e32 v0, 0
	s_and_not1_b32 vcc_lo, exec_lo, s34
	s_wait_alu 0xfffe
	s_cbranch_vccnz .LBB44_25
; %bb.15:                               ;   in Loop: Header=BB44_14 Depth=1
	s_wait_dscnt 0x0
	v_mov_b32_e32 v8, v6
	v_dual_mov_b32 v0, 0 :: v_dual_mov_b32 v7, v5
	s_mov_b64 s[2:3], s[4:5]
	s_branch .LBB44_18
.LBB44_16:                              ;   in Loop: Header=BB44_18 Depth=2
	s_or_b32 exec_lo, exec_lo, s36
.LBB44_17:                              ;   in Loop: Header=BB44_18 Depth=2
	s_delay_alu instid0(SALU_CYCLE_1)
	s_or_b32 exec_lo, exec_lo, s35
	s_wait_alu 0xfffe
	s_add_nc_u64 s[2:3], s[2:3], 1
	v_add_co_u32 v7, vcc_lo, v7, s22
	s_wait_alu 0xfffe
	v_cmp_ge_i64_e64 s24, s[2:3], s[6:7]
	s_wait_alu 0xfffd
	v_add_co_ci_u32_e64 v8, null, s23, v8, vcc_lo
	s_and_b32 vcc_lo, exec_lo, s24
	s_wait_alu 0xfffe
	s_cbranch_vccnz .LBB44_25
.LBB44_18:                              ;   Parent Loop BB44_14 Depth=1
                                        ; =>  This Loop Header: Depth=2
                                        ;       Child Loop BB44_21 Depth 3
	s_and_saveexec_b32 s35, s0
	s_cbranch_execz .LBB44_17
; %bb.19:                               ;   in Loop: Header=BB44_18 Depth=2
	s_wait_alu 0xfffe
	s_lshl_b64 s[24:25], s[2:3], 3
	v_dual_mov_b32 v10, v4 :: v_dual_mov_b32 v9, v3
	s_wait_alu 0xfffe
	s_add_nc_u64 s[24:25], s[8:9], s[24:25]
	s_mov_b32 s36, 0
	s_load_b64 s[24:25], s[24:25], 0x0
	s_wait_kmcnt 0x0
	s_sub_nc_u64 s[24:25], s[24:25], s[12:13]
	s_wait_alu 0xfffe
	s_mul_u64 s[26:27], s[24:25], s[14:15]
	s_mul_u64 s[24:25], s[2:3], s[14:15]
	s_wait_alu 0xfffe
	s_add_nc_u64 s[26:27], s[16:17], s[26:27]
	s_branch .LBB44_21
.LBB44_20:                              ;   in Loop: Header=BB44_21 Depth=3
	s_delay_alu instid0(VALU_DEP_2) | instskip(SKIP_1) | instid1(VALU_DEP_2)
	v_add_co_u32 v11, vcc_lo, s10, v11
	s_wait_alu 0xfffd
	v_add_co_ci_u32_e64 v12, null, s11, v12, vcc_lo
	v_add_co_u32 v18, vcc_lo, s26, v9
	s_wait_alu 0xfffd
	v_add_co_ci_u32_e64 v19, null, s27, v10, vcc_lo
	global_load_i8 v11, v[11:12], off
	global_load_i8 v12, v[18:19], off
	v_add_co_u32 v9, vcc_lo, v9, 32
	s_wait_alu 0xfffd
	v_add_co_ci_u32_e64 v10, null, 0, v10, vcc_lo
	s_delay_alu instid0(VALU_DEP_1)
	v_cmp_le_i64_e32 vcc_lo, s[14:15], v[9:10]
	s_or_b32 s36, vcc_lo, s36
	s_wait_loadcnt 0x0
	v_mad_i32_i24 v0, v12, v11, v0
	s_and_not1_b32 exec_lo, exec_lo, s36
	s_cbranch_execz .LBB44_16
.LBB44_21:                              ;   Parent Loop BB44_14 Depth=1
                                        ;     Parent Loop BB44_18 Depth=2
                                        ; =>    This Inner Loop Header: Depth=3
	s_and_b32 vcc_lo, exec_lo, s31
	s_wait_alu 0xfffe
	s_cbranch_vccz .LBB44_23
; %bb.22:                               ;   in Loop: Header=BB44_21 Depth=3
	v_add_co_u32 v11, vcc_lo, v9, s24
	s_wait_alu 0xfffd
	v_add_co_ci_u32_e64 v12, null, s25, v10, vcc_lo
	s_delay_alu instid0(VALU_DEP_2) | instskip(NEXT) | instid1(VALU_DEP_2)
	v_mul_lo_u32 v18, v11, s15
	v_mul_lo_u32 v19, v12, s14
	v_mad_co_u64_u32 v[11:12], null, v11, s14, v[1:2]
	s_delay_alu instid0(VALU_DEP_1)
	v_add3_u32 v12, v19, v12, v18
	s_cbranch_execnz .LBB44_20
	s_branch .LBB44_24
.LBB44_23:                              ;   in Loop: Header=BB44_21 Depth=3
                                        ; implicit-def: $vgpr11_vgpr12
.LBB44_24:                              ;   in Loop: Header=BB44_21 Depth=3
	v_add_co_u32 v11, vcc_lo, v7, v9
	s_wait_alu 0xfffd
	v_add_co_ci_u32_e64 v12, null, v8, v10, vcc_lo
	s_branch .LBB44_20
.LBB44_25:                              ;   in Loop: Header=BB44_14 Depth=1
	s_wait_dscnt 0x0
	ds_bpermute_b32 v7, v13, v0
	s_wait_dscnt 0x0
	v_add_nc_u32_e32 v0, v7, v0
	ds_bpermute_b32 v7, v14, v0
	s_wait_dscnt 0x0
	v_add_nc_u32_e32 v0, v7, v0
	;; [unrolled: 3-line block ×4, first 2 shown]
	ds_bpermute_b32 v7, v17, v0
	s_and_saveexec_b32 s2, s1
	s_cbranch_execz .LBB44_13
; %bb.26:                               ;   in Loop: Header=BB44_14 Depth=1
	s_wait_dscnt 0x0
	v_add_nc_u32_e32 v0, v7, v0
	v_lshlrev_b64_e32 v[7:8], 2, v[1:2]
	s_and_not1_b32 vcc_lo, exec_lo, s33
	s_delay_alu instid0(VALU_DEP_2)
	v_mul_lo_u32 v0, v0, s28
	s_wait_alu 0xfffe
	s_cbranch_vccnz .LBB44_28
; %bb.27:                               ;   in Loop: Header=BB44_14 Depth=1
	s_delay_alu instid0(VALU_DEP_2)
	v_add_co_u32 v9, vcc_lo, s18, v7
	s_wait_alu 0xfffd
	v_add_co_ci_u32_e64 v10, null, s19, v8, vcc_lo
	global_load_b32 v11, v[9:10], off
	s_wait_loadcnt 0x0
	v_mad_co_u64_u32 v[11:12], null, v11, s29, v[0:1]
	global_store_b32 v[9:10], v11, off
	s_cbranch_execnz .LBB44_13
	s_branch .LBB44_29
.LBB44_28:                              ;   in Loop: Header=BB44_14 Depth=1
.LBB44_29:                              ;   in Loop: Header=BB44_14 Depth=1
	s_delay_alu instid0(VALU_DEP_2)
	v_add_co_u32 v7, vcc_lo, s18, v7
	s_wait_alu 0xfffd
	v_add_co_ci_u32_e64 v8, null, s19, v8, vcc_lo
	global_store_b32 v[7:8], v0, off
	s_branch .LBB44_13
.LBB44_30:
	s_endpgm
	.section	.rodata,"a",@progbits
	.p2align	6, 0x0
	.amdhsa_kernel _ZN9rocsparseL22bsrxmvn_general_kernelILj1024ELj32EillaaiEEv20rocsparse_direction_NS_24const_host_device_scalarIT1_EET3_PKS5_PKT2_SA_S7_PKT4_S5_PKT5_S4_PT6_21rocsparse_index_base_b
		.amdhsa_group_segment_fixed_size 0
		.amdhsa_private_segment_fixed_size 0
		.amdhsa_kernarg_size 104
		.amdhsa_user_sgpr_count 2
		.amdhsa_user_sgpr_dispatch_ptr 0
		.amdhsa_user_sgpr_queue_ptr 0
		.amdhsa_user_sgpr_kernarg_segment_ptr 1
		.amdhsa_user_sgpr_dispatch_id 0
		.amdhsa_user_sgpr_private_segment_size 0
		.amdhsa_wavefront_size32 1
		.amdhsa_uses_dynamic_stack 0
		.amdhsa_enable_private_segment 0
		.amdhsa_system_sgpr_workgroup_id_x 1
		.amdhsa_system_sgpr_workgroup_id_y 0
		.amdhsa_system_sgpr_workgroup_id_z 0
		.amdhsa_system_sgpr_workgroup_info 0
		.amdhsa_system_vgpr_workitem_id 0
		.amdhsa_next_free_vgpr 20
		.amdhsa_next_free_sgpr 37
		.amdhsa_reserve_vcc 1
		.amdhsa_float_round_mode_32 0
		.amdhsa_float_round_mode_16_64 0
		.amdhsa_float_denorm_mode_32 3
		.amdhsa_float_denorm_mode_16_64 3
		.amdhsa_fp16_overflow 0
		.amdhsa_workgroup_processor_mode 1
		.amdhsa_memory_ordered 1
		.amdhsa_forward_progress 1
		.amdhsa_inst_pref_size 11
		.amdhsa_round_robin_scheduling 0
		.amdhsa_exception_fp_ieee_invalid_op 0
		.amdhsa_exception_fp_denorm_src 0
		.amdhsa_exception_fp_ieee_div_zero 0
		.amdhsa_exception_fp_ieee_overflow 0
		.amdhsa_exception_fp_ieee_underflow 0
		.amdhsa_exception_fp_ieee_inexact 0
		.amdhsa_exception_int_div_zero 0
	.end_amdhsa_kernel
	.section	.text._ZN9rocsparseL22bsrxmvn_general_kernelILj1024ELj32EillaaiEEv20rocsparse_direction_NS_24const_host_device_scalarIT1_EET3_PKS5_PKT2_SA_S7_PKT4_S5_PKT5_S4_PT6_21rocsparse_index_base_b,"axG",@progbits,_ZN9rocsparseL22bsrxmvn_general_kernelILj1024ELj32EillaaiEEv20rocsparse_direction_NS_24const_host_device_scalarIT1_EET3_PKS5_PKT2_SA_S7_PKT4_S5_PKT5_S4_PT6_21rocsparse_index_base_b,comdat
.Lfunc_end44:
	.size	_ZN9rocsparseL22bsrxmvn_general_kernelILj1024ELj32EillaaiEEv20rocsparse_direction_NS_24const_host_device_scalarIT1_EET3_PKS5_PKT2_SA_S7_PKT4_S5_PKT5_S4_PT6_21rocsparse_index_base_b, .Lfunc_end44-_ZN9rocsparseL22bsrxmvn_general_kernelILj1024ELj32EillaaiEEv20rocsparse_direction_NS_24const_host_device_scalarIT1_EET3_PKS5_PKT2_SA_S7_PKT4_S5_PKT5_S4_PT6_21rocsparse_index_base_b
                                        ; -- End function
	.set _ZN9rocsparseL22bsrxmvn_general_kernelILj1024ELj32EillaaiEEv20rocsparse_direction_NS_24const_host_device_scalarIT1_EET3_PKS5_PKT2_SA_S7_PKT4_S5_PKT5_S4_PT6_21rocsparse_index_base_b.num_vgpr, 20
	.set _ZN9rocsparseL22bsrxmvn_general_kernelILj1024ELj32EillaaiEEv20rocsparse_direction_NS_24const_host_device_scalarIT1_EET3_PKS5_PKT2_SA_S7_PKT4_S5_PKT5_S4_PT6_21rocsparse_index_base_b.num_agpr, 0
	.set _ZN9rocsparseL22bsrxmvn_general_kernelILj1024ELj32EillaaiEEv20rocsparse_direction_NS_24const_host_device_scalarIT1_EET3_PKS5_PKT2_SA_S7_PKT4_S5_PKT5_S4_PT6_21rocsparse_index_base_b.numbered_sgpr, 37
	.set _ZN9rocsparseL22bsrxmvn_general_kernelILj1024ELj32EillaaiEEv20rocsparse_direction_NS_24const_host_device_scalarIT1_EET3_PKS5_PKT2_SA_S7_PKT4_S5_PKT5_S4_PT6_21rocsparse_index_base_b.num_named_barrier, 0
	.set _ZN9rocsparseL22bsrxmvn_general_kernelILj1024ELj32EillaaiEEv20rocsparse_direction_NS_24const_host_device_scalarIT1_EET3_PKS5_PKT2_SA_S7_PKT4_S5_PKT5_S4_PT6_21rocsparse_index_base_b.private_seg_size, 0
	.set _ZN9rocsparseL22bsrxmvn_general_kernelILj1024ELj32EillaaiEEv20rocsparse_direction_NS_24const_host_device_scalarIT1_EET3_PKS5_PKT2_SA_S7_PKT4_S5_PKT5_S4_PT6_21rocsparse_index_base_b.uses_vcc, 1
	.set _ZN9rocsparseL22bsrxmvn_general_kernelILj1024ELj32EillaaiEEv20rocsparse_direction_NS_24const_host_device_scalarIT1_EET3_PKS5_PKT2_SA_S7_PKT4_S5_PKT5_S4_PT6_21rocsparse_index_base_b.uses_flat_scratch, 0
	.set _ZN9rocsparseL22bsrxmvn_general_kernelILj1024ELj32EillaaiEEv20rocsparse_direction_NS_24const_host_device_scalarIT1_EET3_PKS5_PKT2_SA_S7_PKT4_S5_PKT5_S4_PT6_21rocsparse_index_base_b.has_dyn_sized_stack, 0
	.set _ZN9rocsparseL22bsrxmvn_general_kernelILj1024ELj32EillaaiEEv20rocsparse_direction_NS_24const_host_device_scalarIT1_EET3_PKS5_PKT2_SA_S7_PKT4_S5_PKT5_S4_PT6_21rocsparse_index_base_b.has_recursion, 0
	.set _ZN9rocsparseL22bsrxmvn_general_kernelILj1024ELj32EillaaiEEv20rocsparse_direction_NS_24const_host_device_scalarIT1_EET3_PKS5_PKT2_SA_S7_PKT4_S5_PKT5_S4_PT6_21rocsparse_index_base_b.has_indirect_call, 0
	.section	.AMDGPU.csdata,"",@progbits
; Kernel info:
; codeLenInByte = 1328
; TotalNumSgprs: 39
; NumVgprs: 20
; ScratchSize: 0
; MemoryBound: 0
; FloatMode: 240
; IeeeMode: 1
; LDSByteSize: 0 bytes/workgroup (compile time only)
; SGPRBlocks: 0
; VGPRBlocks: 2
; NumSGPRsForWavesPerEU: 39
; NumVGPRsForWavesPerEU: 20
; Occupancy: 16
; WaveLimiterHint : 1
; COMPUTE_PGM_RSRC2:SCRATCH_EN: 0
; COMPUTE_PGM_RSRC2:USER_SGPR: 2
; COMPUTE_PGM_RSRC2:TRAP_HANDLER: 0
; COMPUTE_PGM_RSRC2:TGID_X_EN: 1
; COMPUTE_PGM_RSRC2:TGID_Y_EN: 0
; COMPUTE_PGM_RSRC2:TGID_Z_EN: 0
; COMPUTE_PGM_RSRC2:TIDIG_COMP_CNT: 0
	.section	.text._ZN9rocsparseL22bsrxmvn_general_kernelILj64ELj8EfiiaafEEv20rocsparse_direction_NS_24const_host_device_scalarIT1_EET3_PKS5_PKT2_SA_S7_PKT4_S5_PKT5_S4_PT6_21rocsparse_index_base_b,"axG",@progbits,_ZN9rocsparseL22bsrxmvn_general_kernelILj64ELj8EfiiaafEEv20rocsparse_direction_NS_24const_host_device_scalarIT1_EET3_PKS5_PKT2_SA_S7_PKT4_S5_PKT5_S4_PT6_21rocsparse_index_base_b,comdat
	.globl	_ZN9rocsparseL22bsrxmvn_general_kernelILj64ELj8EfiiaafEEv20rocsparse_direction_NS_24const_host_device_scalarIT1_EET3_PKS5_PKT2_SA_S7_PKT4_S5_PKT5_S4_PT6_21rocsparse_index_base_b ; -- Begin function _ZN9rocsparseL22bsrxmvn_general_kernelILj64ELj8EfiiaafEEv20rocsparse_direction_NS_24const_host_device_scalarIT1_EET3_PKS5_PKT2_SA_S7_PKT4_S5_PKT5_S4_PT6_21rocsparse_index_base_b
	.p2align	8
	.type	_ZN9rocsparseL22bsrxmvn_general_kernelILj64ELj8EfiiaafEEv20rocsparse_direction_NS_24const_host_device_scalarIT1_EET3_PKS5_PKT2_SA_S7_PKT4_S5_PKT5_S4_PT6_21rocsparse_index_base_b,@function
_ZN9rocsparseL22bsrxmvn_general_kernelILj64ELj8EfiiaafEEv20rocsparse_direction_NS_24const_host_device_scalarIT1_EET3_PKS5_PKT2_SA_S7_PKT4_S5_PKT5_S4_PT6_21rocsparse_index_base_b: ; @_ZN9rocsparseL22bsrxmvn_general_kernelILj64ELj8EfiiaafEEv20rocsparse_direction_NS_24const_host_device_scalarIT1_EET3_PKS5_PKT2_SA_S7_PKT4_S5_PKT5_S4_PT6_21rocsparse_index_base_b
; %bb.0:
	s_clause 0x2
	s_load_b64 s[2:3], s[0:1], 0x60
	s_load_b64 s[12:13], s[0:1], 0x8
	s_load_b64 s[14:15], s[0:1], 0x50
	s_wait_kmcnt 0x0
	s_bitcmp1_b32 s3, 0
	s_cselect_b32 s3, -1, 0
	s_delay_alu instid0(SALU_CYCLE_1)
	s_and_b32 vcc_lo, exec_lo, s3
	s_xor_b32 s3, s3, -1
	s_cbranch_vccnz .LBB45_2
; %bb.1:
	s_load_b32 s12, s[12:13], 0x0
.LBB45_2:
	s_and_not1_b32 vcc_lo, exec_lo, s3
	s_cbranch_vccnz .LBB45_4
; %bb.3:
	s_load_b32 s14, s[14:15], 0x0
.LBB45_4:
	s_wait_kmcnt 0x0
	s_cmp_neq_f32 s12, 0
	s_cselect_b32 s3, -1, 0
	s_cmp_neq_f32 s14, 1.0
	s_cselect_b32 s4, -1, 0
	s_delay_alu instid0(SALU_CYCLE_1) | instskip(NEXT) | instid1(SALU_CYCLE_1)
	s_or_b32 s3, s3, s4
	s_and_not1_b32 vcc_lo, exec_lo, s3
	s_cbranch_vccnz .LBB45_27
; %bb.5:
	s_load_b64 s[4:5], s[0:1], 0x18
	s_wait_kmcnt 0x0
	s_cmp_eq_u64 s[4:5], 0
	s_cbranch_scc1 .LBB45_7
; %bb.6:
	s_mov_b32 s6, ttmp9
	s_ashr_i32 s7, ttmp9, 31
	s_delay_alu instid0(SALU_CYCLE_1) | instskip(NEXT) | instid1(SALU_CYCLE_1)
	s_lshl_b64 s[6:7], s[6:7], 2
	s_add_nc_u64 s[4:5], s[4:5], s[6:7]
	s_load_b32 s3, s[4:5], 0x0
	s_wait_kmcnt 0x0
	s_sub_co_i32 s22, s3, s2
	s_branch .LBB45_8
.LBB45_7:
	s_mov_b32 s22, ttmp9
.LBB45_8:
	s_load_b32 s16, s[0:1], 0x40
	v_lshrrev_b32_e32 v1, 3, v0
	s_mov_b32 s3, exec_lo
	s_wait_kmcnt 0x0
	s_delay_alu instid0(VALU_DEP_1)
	v_cmpx_gt_i32_e64 s16, v1
	s_cbranch_execz .LBB45_27
; %bb.9:
	s_load_b256 s[4:11], s[0:1], 0x20
	s_ashr_i32 s23, s22, 31
	v_mbcnt_lo_u32_b32 v5, -1, 0
	s_lshl_b64 s[18:19], s[22:23], 2
	s_load_b32 s15, s[0:1], 0x0
	v_dual_mov_b32 v2, 0 :: v_dual_and_b32 v3, 7, v0
	s_delay_alu instid0(VALU_DEP_2)
	v_xor_b32_e32 v6, 4, v5
	v_xor_b32_e32 v7, 2, v5
	;; [unrolled: 1-line block ×3, first 2 shown]
	v_mul_lo_u32 v0, s16, v1
	v_mul_lo_u32 v11, s16, v3
	v_cmp_gt_i32_e32 vcc_lo, 32, v6
	s_mov_b32 s17, 0
	s_mul_i32 s27, s22, s16
	v_cndmask_b32_e32 v6, v5, v6, vcc_lo
	v_cmp_gt_i32_e32 vcc_lo, 32, v7
	v_mov_b32_e32 v4, v2
	s_wait_kmcnt 0x0
	s_add_nc_u64 s[4:5], s[4:5], s[18:19]
	s_add_nc_u64 s[18:19], s[6:7], s[18:19]
	s_load_b32 s13, s[4:5], 0x0
	s_add_nc_u64 s[20:21], s[4:5], 4
	v_cndmask_b32_e32 v7, v5, v7, vcc_lo
	v_cmp_gt_i32_e32 vcc_lo, 32, v8
	s_delay_alu instid0(VALU_DEP_2) | instskip(SKIP_2) | instid1(VALU_DEP_1)
	v_lshlrev_b32_e32 v13, 2, v7
	s_wait_alu 0xfffd
	v_dual_cndmask_b32 v5, v5, v8 :: v_dual_lshlrev_b32 v12, 2, v6
	v_lshlrev_b32_e32 v14, 2, v5
	s_wait_kmcnt 0x0
	s_sub_co_i32 s4, s13, s2
	s_cmp_eq_u64 s[6:7], 0
	s_cselect_b32 s7, s21, s19
	s_cselect_b32 s6, s20, s18
	s_load_b32 s5, s[6:7], 0x0
	s_clause 0x1
	s_load_b64 s[6:7], s[0:1], 0x58
	s_load_b64 s[18:19], s[0:1], 0x48
	v_cmp_gt_u32_e64 s0, s16, v3
	v_cmp_eq_u32_e64 s1, 7, v3
	s_mul_u64 s[20:21], s[16:17], s[16:17]
	s_wait_kmcnt 0x0
	s_sub_co_i32 s3, s5, s2
	s_cmp_lt_i32 s13, s5
	s_cselect_b32 s13, -1, 0
	s_cmp_lg_u32 s15, 0
	s_cselect_b32 s15, -1, 0
	s_cmp_eq_f32 s14, 0
	s_cselect_b32 s26, -1, 0
	s_ashr_i32 s5, s4, 31
	s_delay_alu instid0(SALU_CYCLE_1)
	s_mul_u64 s[22:23], s[4:5], s[20:21]
	s_lshl_b32 s5, s16, 3
	s_branch .LBB45_11
.LBB45_10:                              ;   in Loop: Header=BB45_11 Depth=1
	s_wait_alu 0xfffe
	s_or_b32 exec_lo, exec_lo, s24
	v_add_nc_u32_e32 v1, 8, v1
	v_add_nc_u32_e32 v0, s5, v0
	s_delay_alu instid0(VALU_DEP_2)
	v_cmp_le_i32_e32 vcc_lo, s16, v1
	s_or_b32 s17, vcc_lo, s17
	s_wait_alu 0xfffe
	s_and_not1_b32 exec_lo, exec_lo, s17
	s_cbranch_execz .LBB45_27
.LBB45_11:                              ; =>This Loop Header: Depth=1
                                        ;     Child Loop BB45_15 Depth 2
                                        ;       Child Loop BB45_18 Depth 3
	v_mov_b32_e32 v15, 0
	s_and_not1_b32 vcc_lo, exec_lo, s13
	s_wait_alu 0xfffe
	s_cbranch_vccnz .LBB45_22
; %bb.12:                               ;   in Loop: Header=BB45_11 Depth=1
	v_ashrrev_i32_e32 v5, 31, v0
	v_add_co_u32 v16, vcc_lo, s22, v0
	v_mov_b32_e32 v15, 0
	s_mov_b32 s24, s4
	s_wait_alu 0xfffd
	v_add_co_ci_u32_e64 v17, null, s23, v5, vcc_lo
	s_branch .LBB45_15
.LBB45_13:                              ;   in Loop: Header=BB45_15 Depth=2
	s_or_b32 exec_lo, exec_lo, s25
.LBB45_14:                              ;   in Loop: Header=BB45_15 Depth=2
	s_wait_alu 0xfffe
	s_or_b32 exec_lo, exec_lo, s28
	v_add_co_u32 v16, vcc_lo, v16, s20
	s_wait_alu 0xfffd
	v_add_co_ci_u32_e64 v17, null, s21, v17, vcc_lo
	s_add_co_i32 s24, s24, 1
	s_wait_alu 0xfffe
	s_cmp_ge_i32 s24, s3
	s_cbranch_scc1 .LBB45_22
.LBB45_15:                              ;   Parent Loop BB45_11 Depth=1
                                        ; =>  This Loop Header: Depth=2
                                        ;       Child Loop BB45_18 Depth 3
	s_and_saveexec_b32 s28, s0
	s_cbranch_execz .LBB45_14
; %bb.16:                               ;   in Loop: Header=BB45_15 Depth=2
	s_wait_alu 0xfffe
	s_ashr_i32 s25, s24, 31
	s_wait_dscnt 0x0
	v_mad_co_u64_u32 v[5:6], null, s20, s24, v[1:2]
	s_wait_alu 0xfffe
	s_lshl_b64 s[30:31], s[24:25], 2
	s_mul_i32 s25, s20, s25
	s_wait_alu 0xfffe
	s_add_nc_u64 s[30:31], s[8:9], s[30:31]
	v_mov_b32_e32 v8, v4
	s_load_b32 s29, s[30:31], 0x0
	s_mul_i32 s30, s21, s24
	v_dual_mov_b32 v18, v11 :: v_dual_mov_b32 v7, v3
	s_wait_alu 0xfffe
	v_add3_u32 v6, s25, s30, v6
	s_wait_kmcnt 0x0
	s_sub_co_i32 s25, s29, s2
	s_wait_alu 0xfffe
	s_mul_i32 s29, s25, s16
	s_mov_b32 s25, 0
	s_branch .LBB45_18
.LBB45_17:                              ;   in Loop: Header=BB45_18 Depth=3
	v_add_nc_u32_e32 v19, s29, v7
	v_add_co_u32 v9, vcc_lo, s10, v9
	s_wait_alu 0xfffd
	v_add_co_ci_u32_e64 v10, null, s11, v10, vcc_lo
	s_delay_alu instid0(VALU_DEP_3) | instskip(SKIP_3) | instid1(VALU_DEP_3)
	v_ashrrev_i32_e32 v20, 31, v19
	v_add_co_u32 v19, vcc_lo, s18, v19
	v_add_nc_u32_e32 v18, s5, v18
	s_wait_alu 0xfffd
	v_add_co_ci_u32_e64 v20, null, s19, v20, vcc_lo
	v_add_co_u32 v7, vcc_lo, v7, 8
	global_load_i8 v9, v[9:10], off
	global_load_i8 v10, v[19:20], off
	s_wait_alu 0xfffd
	v_add_co_ci_u32_e64 v8, null, 0, v8, vcc_lo
	v_cmp_le_i32_e32 vcc_lo, s16, v7
	s_or_b32 s25, vcc_lo, s25
	s_wait_loadcnt 0x1
	v_cvt_f32_i32_e32 v9, v9
	s_wait_loadcnt 0x0
	v_cvt_f32_i32_e32 v10, v10
	s_delay_alu instid0(VALU_DEP_1)
	v_fmac_f32_e32 v15, v9, v10
	s_wait_alu 0xfffe
	s_and_not1_b32 exec_lo, exec_lo, s25
	s_cbranch_execz .LBB45_13
.LBB45_18:                              ;   Parent Loop BB45_11 Depth=1
                                        ;     Parent Loop BB45_15 Depth=2
                                        ; =>    This Inner Loop Header: Depth=3
	s_and_b32 vcc_lo, exec_lo, s15
	s_wait_alu 0xfffe
	s_cbranch_vccz .LBB45_20
; %bb.19:                               ;   in Loop: Header=BB45_18 Depth=3
	v_ashrrev_i32_e32 v10, 31, v18
	v_add_co_u32 v9, vcc_lo, v5, v18
	s_wait_alu 0xfffd
	s_delay_alu instid0(VALU_DEP_2)
	v_add_co_ci_u32_e64 v10, null, v6, v10, vcc_lo
	s_cbranch_execnz .LBB45_17
	s_branch .LBB45_21
.LBB45_20:                              ;   in Loop: Header=BB45_18 Depth=3
                                        ; implicit-def: $vgpr9_vgpr10
.LBB45_21:                              ;   in Loop: Header=BB45_18 Depth=3
	v_add_co_u32 v9, vcc_lo, v16, v7
	s_wait_alu 0xfffd
	v_add_co_ci_u32_e64 v10, null, v17, v8, vcc_lo
	s_branch .LBB45_17
.LBB45_22:                              ;   in Loop: Header=BB45_11 Depth=1
	ds_bpermute_b32 v5, v12, v15
	s_wait_dscnt 0x0
	v_add_f32_e32 v5, v15, v5
	ds_bpermute_b32 v6, v13, v5
	s_wait_dscnt 0x0
	v_add_f32_e32 v5, v5, v6
	ds_bpermute_b32 v6, v14, v5
	s_and_saveexec_b32 s24, s1
	s_cbranch_execz .LBB45_10
; %bb.23:                               ;   in Loop: Header=BB45_11 Depth=1
	s_wait_dscnt 0x0
	v_dual_add_f32 v6, v5, v6 :: v_dual_add_nc_u32 v5, s27, v1
	s_and_b32 vcc_lo, exec_lo, s26
	s_delay_alu instid0(VALU_DEP_1) | instskip(NEXT) | instid1(VALU_DEP_2)
	v_mul_f32_e32 v7, s12, v6
	v_ashrrev_i32_e32 v6, 31, v5
	s_wait_alu 0xfffe
	s_cbranch_vccz .LBB45_25
; %bb.24:                               ;   in Loop: Header=BB45_11 Depth=1
	s_delay_alu instid0(VALU_DEP_1) | instskip(NEXT) | instid1(VALU_DEP_1)
	v_lshlrev_b64_e32 v[8:9], 2, v[5:6]
	v_add_co_u32 v8, vcc_lo, s6, v8
	s_wait_alu 0xfffd
	s_delay_alu instid0(VALU_DEP_2)
	v_add_co_ci_u32_e64 v9, null, s7, v9, vcc_lo
	global_store_b32 v[8:9], v7, off
	s_cbranch_execnz .LBB45_10
	s_branch .LBB45_26
.LBB45_25:                              ;   in Loop: Header=BB45_11 Depth=1
.LBB45_26:                              ;   in Loop: Header=BB45_11 Depth=1
	s_delay_alu instid0(VALU_DEP_1) | instskip(NEXT) | instid1(VALU_DEP_1)
	v_lshlrev_b64_e32 v[5:6], 2, v[5:6]
	v_add_co_u32 v5, vcc_lo, s6, v5
	s_wait_alu 0xfffd
	s_delay_alu instid0(VALU_DEP_2)
	v_add_co_ci_u32_e64 v6, null, s7, v6, vcc_lo
	global_load_b32 v8, v[5:6], off
	s_wait_loadcnt 0x0
	v_fmac_f32_e32 v7, s14, v8
	global_store_b32 v[5:6], v7, off
	s_branch .LBB45_10
.LBB45_27:
	s_endpgm
	.section	.rodata,"a",@progbits
	.p2align	6, 0x0
	.amdhsa_kernel _ZN9rocsparseL22bsrxmvn_general_kernelILj64ELj8EfiiaafEEv20rocsparse_direction_NS_24const_host_device_scalarIT1_EET3_PKS5_PKT2_SA_S7_PKT4_S5_PKT5_S4_PT6_21rocsparse_index_base_b
		.amdhsa_group_segment_fixed_size 0
		.amdhsa_private_segment_fixed_size 0
		.amdhsa_kernarg_size 104
		.amdhsa_user_sgpr_count 2
		.amdhsa_user_sgpr_dispatch_ptr 0
		.amdhsa_user_sgpr_queue_ptr 0
		.amdhsa_user_sgpr_kernarg_segment_ptr 1
		.amdhsa_user_sgpr_dispatch_id 0
		.amdhsa_user_sgpr_private_segment_size 0
		.amdhsa_wavefront_size32 1
		.amdhsa_uses_dynamic_stack 0
		.amdhsa_enable_private_segment 0
		.amdhsa_system_sgpr_workgroup_id_x 1
		.amdhsa_system_sgpr_workgroup_id_y 0
		.amdhsa_system_sgpr_workgroup_id_z 0
		.amdhsa_system_sgpr_workgroup_info 0
		.amdhsa_system_vgpr_workitem_id 0
		.amdhsa_next_free_vgpr 21
		.amdhsa_next_free_sgpr 32
		.amdhsa_reserve_vcc 1
		.amdhsa_float_round_mode_32 0
		.amdhsa_float_round_mode_16_64 0
		.amdhsa_float_denorm_mode_32 3
		.amdhsa_float_denorm_mode_16_64 3
		.amdhsa_fp16_overflow 0
		.amdhsa_workgroup_processor_mode 1
		.amdhsa_memory_ordered 1
		.amdhsa_forward_progress 1
		.amdhsa_inst_pref_size 10
		.amdhsa_round_robin_scheduling 0
		.amdhsa_exception_fp_ieee_invalid_op 0
		.amdhsa_exception_fp_denorm_src 0
		.amdhsa_exception_fp_ieee_div_zero 0
		.amdhsa_exception_fp_ieee_overflow 0
		.amdhsa_exception_fp_ieee_underflow 0
		.amdhsa_exception_fp_ieee_inexact 0
		.amdhsa_exception_int_div_zero 0
	.end_amdhsa_kernel
	.section	.text._ZN9rocsparseL22bsrxmvn_general_kernelILj64ELj8EfiiaafEEv20rocsparse_direction_NS_24const_host_device_scalarIT1_EET3_PKS5_PKT2_SA_S7_PKT4_S5_PKT5_S4_PT6_21rocsparse_index_base_b,"axG",@progbits,_ZN9rocsparseL22bsrxmvn_general_kernelILj64ELj8EfiiaafEEv20rocsparse_direction_NS_24const_host_device_scalarIT1_EET3_PKS5_PKT2_SA_S7_PKT4_S5_PKT5_S4_PT6_21rocsparse_index_base_b,comdat
.Lfunc_end45:
	.size	_ZN9rocsparseL22bsrxmvn_general_kernelILj64ELj8EfiiaafEEv20rocsparse_direction_NS_24const_host_device_scalarIT1_EET3_PKS5_PKT2_SA_S7_PKT4_S5_PKT5_S4_PT6_21rocsparse_index_base_b, .Lfunc_end45-_ZN9rocsparseL22bsrxmvn_general_kernelILj64ELj8EfiiaafEEv20rocsparse_direction_NS_24const_host_device_scalarIT1_EET3_PKS5_PKT2_SA_S7_PKT4_S5_PKT5_S4_PT6_21rocsparse_index_base_b
                                        ; -- End function
	.set _ZN9rocsparseL22bsrxmvn_general_kernelILj64ELj8EfiiaafEEv20rocsparse_direction_NS_24const_host_device_scalarIT1_EET3_PKS5_PKT2_SA_S7_PKT4_S5_PKT5_S4_PT6_21rocsparse_index_base_b.num_vgpr, 21
	.set _ZN9rocsparseL22bsrxmvn_general_kernelILj64ELj8EfiiaafEEv20rocsparse_direction_NS_24const_host_device_scalarIT1_EET3_PKS5_PKT2_SA_S7_PKT4_S5_PKT5_S4_PT6_21rocsparse_index_base_b.num_agpr, 0
	.set _ZN9rocsparseL22bsrxmvn_general_kernelILj64ELj8EfiiaafEEv20rocsparse_direction_NS_24const_host_device_scalarIT1_EET3_PKS5_PKT2_SA_S7_PKT4_S5_PKT5_S4_PT6_21rocsparse_index_base_b.numbered_sgpr, 32
	.set _ZN9rocsparseL22bsrxmvn_general_kernelILj64ELj8EfiiaafEEv20rocsparse_direction_NS_24const_host_device_scalarIT1_EET3_PKS5_PKT2_SA_S7_PKT4_S5_PKT5_S4_PT6_21rocsparse_index_base_b.num_named_barrier, 0
	.set _ZN9rocsparseL22bsrxmvn_general_kernelILj64ELj8EfiiaafEEv20rocsparse_direction_NS_24const_host_device_scalarIT1_EET3_PKS5_PKT2_SA_S7_PKT4_S5_PKT5_S4_PT6_21rocsparse_index_base_b.private_seg_size, 0
	.set _ZN9rocsparseL22bsrxmvn_general_kernelILj64ELj8EfiiaafEEv20rocsparse_direction_NS_24const_host_device_scalarIT1_EET3_PKS5_PKT2_SA_S7_PKT4_S5_PKT5_S4_PT6_21rocsparse_index_base_b.uses_vcc, 1
	.set _ZN9rocsparseL22bsrxmvn_general_kernelILj64ELj8EfiiaafEEv20rocsparse_direction_NS_24const_host_device_scalarIT1_EET3_PKS5_PKT2_SA_S7_PKT4_S5_PKT5_S4_PT6_21rocsparse_index_base_b.uses_flat_scratch, 0
	.set _ZN9rocsparseL22bsrxmvn_general_kernelILj64ELj8EfiiaafEEv20rocsparse_direction_NS_24const_host_device_scalarIT1_EET3_PKS5_PKT2_SA_S7_PKT4_S5_PKT5_S4_PT6_21rocsparse_index_base_b.has_dyn_sized_stack, 0
	.set _ZN9rocsparseL22bsrxmvn_general_kernelILj64ELj8EfiiaafEEv20rocsparse_direction_NS_24const_host_device_scalarIT1_EET3_PKS5_PKT2_SA_S7_PKT4_S5_PKT5_S4_PT6_21rocsparse_index_base_b.has_recursion, 0
	.set _ZN9rocsparseL22bsrxmvn_general_kernelILj64ELj8EfiiaafEEv20rocsparse_direction_NS_24const_host_device_scalarIT1_EET3_PKS5_PKT2_SA_S7_PKT4_S5_PKT5_S4_PT6_21rocsparse_index_base_b.has_indirect_call, 0
	.section	.AMDGPU.csdata,"",@progbits
; Kernel info:
; codeLenInByte = 1160
; TotalNumSgprs: 34
; NumVgprs: 21
; ScratchSize: 0
; MemoryBound: 0
; FloatMode: 240
; IeeeMode: 1
; LDSByteSize: 0 bytes/workgroup (compile time only)
; SGPRBlocks: 0
; VGPRBlocks: 2
; NumSGPRsForWavesPerEU: 34
; NumVGPRsForWavesPerEU: 21
; Occupancy: 16
; WaveLimiterHint : 1
; COMPUTE_PGM_RSRC2:SCRATCH_EN: 0
; COMPUTE_PGM_RSRC2:USER_SGPR: 2
; COMPUTE_PGM_RSRC2:TRAP_HANDLER: 0
; COMPUTE_PGM_RSRC2:TGID_X_EN: 1
; COMPUTE_PGM_RSRC2:TGID_Y_EN: 0
; COMPUTE_PGM_RSRC2:TGID_Z_EN: 0
; COMPUTE_PGM_RSRC2:TIDIG_COMP_CNT: 0
	.section	.text._ZN9rocsparseL22bsrxmvn_general_kernelILj256ELj16EfiiaafEEv20rocsparse_direction_NS_24const_host_device_scalarIT1_EET3_PKS5_PKT2_SA_S7_PKT4_S5_PKT5_S4_PT6_21rocsparse_index_base_b,"axG",@progbits,_ZN9rocsparseL22bsrxmvn_general_kernelILj256ELj16EfiiaafEEv20rocsparse_direction_NS_24const_host_device_scalarIT1_EET3_PKS5_PKT2_SA_S7_PKT4_S5_PKT5_S4_PT6_21rocsparse_index_base_b,comdat
	.globl	_ZN9rocsparseL22bsrxmvn_general_kernelILj256ELj16EfiiaafEEv20rocsparse_direction_NS_24const_host_device_scalarIT1_EET3_PKS5_PKT2_SA_S7_PKT4_S5_PKT5_S4_PT6_21rocsparse_index_base_b ; -- Begin function _ZN9rocsparseL22bsrxmvn_general_kernelILj256ELj16EfiiaafEEv20rocsparse_direction_NS_24const_host_device_scalarIT1_EET3_PKS5_PKT2_SA_S7_PKT4_S5_PKT5_S4_PT6_21rocsparse_index_base_b
	.p2align	8
	.type	_ZN9rocsparseL22bsrxmvn_general_kernelILj256ELj16EfiiaafEEv20rocsparse_direction_NS_24const_host_device_scalarIT1_EET3_PKS5_PKT2_SA_S7_PKT4_S5_PKT5_S4_PT6_21rocsparse_index_base_b,@function
_ZN9rocsparseL22bsrxmvn_general_kernelILj256ELj16EfiiaafEEv20rocsparse_direction_NS_24const_host_device_scalarIT1_EET3_PKS5_PKT2_SA_S7_PKT4_S5_PKT5_S4_PT6_21rocsparse_index_base_b: ; @_ZN9rocsparseL22bsrxmvn_general_kernelILj256ELj16EfiiaafEEv20rocsparse_direction_NS_24const_host_device_scalarIT1_EET3_PKS5_PKT2_SA_S7_PKT4_S5_PKT5_S4_PT6_21rocsparse_index_base_b
; %bb.0:
	s_clause 0x2
	s_load_b64 s[2:3], s[0:1], 0x60
	s_load_b64 s[12:13], s[0:1], 0x8
	;; [unrolled: 1-line block ×3, first 2 shown]
	s_wait_kmcnt 0x0
	s_bitcmp1_b32 s3, 0
	s_cselect_b32 s3, -1, 0
	s_delay_alu instid0(SALU_CYCLE_1)
	s_and_b32 vcc_lo, exec_lo, s3
	s_xor_b32 s3, s3, -1
	s_cbranch_vccnz .LBB46_2
; %bb.1:
	s_load_b32 s12, s[12:13], 0x0
.LBB46_2:
	s_and_not1_b32 vcc_lo, exec_lo, s3
	s_cbranch_vccnz .LBB46_4
; %bb.3:
	s_load_b32 s14, s[14:15], 0x0
.LBB46_4:
	s_wait_kmcnt 0x0
	s_cmp_neq_f32 s12, 0
	s_cselect_b32 s3, -1, 0
	s_cmp_neq_f32 s14, 1.0
	s_cselect_b32 s4, -1, 0
	s_delay_alu instid0(SALU_CYCLE_1) | instskip(NEXT) | instid1(SALU_CYCLE_1)
	s_or_b32 s3, s3, s4
	s_and_not1_b32 vcc_lo, exec_lo, s3
	s_cbranch_vccnz .LBB46_27
; %bb.5:
	s_load_b64 s[4:5], s[0:1], 0x18
	s_wait_kmcnt 0x0
	s_cmp_eq_u64 s[4:5], 0
	s_cbranch_scc1 .LBB46_7
; %bb.6:
	s_mov_b32 s6, ttmp9
	s_ashr_i32 s7, ttmp9, 31
	s_delay_alu instid0(SALU_CYCLE_1) | instskip(NEXT) | instid1(SALU_CYCLE_1)
	s_lshl_b64 s[6:7], s[6:7], 2
	s_add_nc_u64 s[4:5], s[4:5], s[6:7]
	s_load_b32 s3, s[4:5], 0x0
	s_wait_kmcnt 0x0
	s_sub_co_i32 s22, s3, s2
	s_branch .LBB46_8
.LBB46_7:
	s_mov_b32 s22, ttmp9
.LBB46_8:
	s_load_b32 s16, s[0:1], 0x40
	v_lshrrev_b32_e32 v1, 4, v0
	s_mov_b32 s3, exec_lo
	s_wait_kmcnt 0x0
	s_delay_alu instid0(VALU_DEP_1)
	v_cmpx_gt_i32_e64 s16, v1
	s_cbranch_execz .LBB46_27
; %bb.9:
	s_load_b256 s[4:11], s[0:1], 0x20
	s_ashr_i32 s23, s22, 31
	v_mbcnt_lo_u32_b32 v5, -1, 0
	s_lshl_b64 s[20:21], s[22:23], 2
	s_load_b32 s15, s[0:1], 0x0
	v_dual_mov_b32 v2, 0 :: v_dual_and_b32 v3, 15, v0
	s_delay_alu instid0(VALU_DEP_2)
	v_xor_b32_e32 v6, 8, v5
	v_xor_b32_e32 v7, 4, v5
	;; [unrolled: 1-line block ×4, first 2 shown]
	v_mul_lo_u32 v0, s16, v1
	v_cmp_gt_i32_e32 vcc_lo, 32, v6
	v_mul_lo_u32 v11, s16, v3
	s_mov_b32 s17, 0
	s_mul_i32 s27, s22, s16
	v_cndmask_b32_e32 v6, v5, v6, vcc_lo
	v_cmp_gt_i32_e32 vcc_lo, 32, v7
	v_mov_b32_e32 v4, v2
	s_wait_kmcnt 0x0
	s_add_nc_u64 s[24:25], s[4:5], s[20:21]
	s_load_b32 s13, s[24:25], 0x0
	s_clause 0x1
	s_load_b64 s[4:5], s[0:1], 0x58
	s_load_b64 s[18:19], s[0:1], 0x48
	s_add_nc_u64 s[0:1], s[6:7], s[20:21]
	s_add_nc_u64 s[24:25], s[24:25], 4
	v_cndmask_b32_e32 v7, v5, v7, vcc_lo
	v_cmp_gt_i32_e32 vcc_lo, 32, v8
	s_wait_alu 0xfffd
	s_delay_alu instid0(VALU_DEP_2)
	v_dual_cndmask_b32 v8, v5, v8 :: v_dual_lshlrev_b32 v13, 2, v7
	v_cmp_gt_i32_e32 vcc_lo, 32, v9
	s_wait_alu 0xfffd
	v_dual_cndmask_b32 v5, v5, v9 :: v_dual_lshlrev_b32 v12, 2, v6
	s_wait_kmcnt 0x0
	s_sub_co_i32 s20, s13, s2
	s_cmp_eq_u64 s[6:7], 0
	s_delay_alu instid0(VALU_DEP_1)
	v_lshlrev_b32_e32 v15, 2, v5
	s_cselect_b32 s1, s25, s1
	s_cselect_b32 s0, s24, s0
	v_lshlrev_b32_e32 v14, 2, v8
	s_load_b32 s21, s[0:1], 0x0
	v_cmp_gt_u32_e64 s0, s16, v3
	v_cmp_eq_u32_e64 s1, 15, v3
	s_mul_u64 s[6:7], s[16:17], s[16:17]
	s_wait_kmcnt 0x0
	s_sub_co_i32 s3, s21, s2
	s_cmp_lt_i32 s13, s21
	s_cselect_b32 s13, -1, 0
	s_cmp_lg_u32 s15, 0
	s_cselect_b32 s15, -1, 0
	s_cmp_eq_f32 s14, 0
	s_cselect_b32 s26, -1, 0
	s_ashr_i32 s21, s20, 31
	s_delay_alu instid0(SALU_CYCLE_1)
	s_mul_u64 s[22:23], s[20:21], s[6:7]
	s_lshl_b32 s21, s16, 4
	s_branch .LBB46_11
.LBB46_10:                              ;   in Loop: Header=BB46_11 Depth=1
	s_wait_alu 0xfffe
	s_or_b32 exec_lo, exec_lo, s24
	v_add_nc_u32_e32 v1, 16, v1
	v_add_nc_u32_e32 v0, s21, v0
	s_delay_alu instid0(VALU_DEP_2)
	v_cmp_le_i32_e32 vcc_lo, s16, v1
	s_or_b32 s17, vcc_lo, s17
	s_wait_alu 0xfffe
	s_and_not1_b32 exec_lo, exec_lo, s17
	s_cbranch_execz .LBB46_27
.LBB46_11:                              ; =>This Loop Header: Depth=1
                                        ;     Child Loop BB46_15 Depth 2
                                        ;       Child Loop BB46_18 Depth 3
	v_mov_b32_e32 v16, 0
	s_and_not1_b32 vcc_lo, exec_lo, s13
	s_wait_alu 0xfffe
	s_cbranch_vccnz .LBB46_22
; %bb.12:                               ;   in Loop: Header=BB46_11 Depth=1
	v_ashrrev_i32_e32 v5, 31, v0
	v_add_co_u32 v17, vcc_lo, s22, v0
	v_mov_b32_e32 v16, 0
	s_mov_b32 s24, s20
	s_wait_alu 0xfffd
	v_add_co_ci_u32_e64 v18, null, s23, v5, vcc_lo
	s_branch .LBB46_15
.LBB46_13:                              ;   in Loop: Header=BB46_15 Depth=2
	s_or_b32 exec_lo, exec_lo, s25
.LBB46_14:                              ;   in Loop: Header=BB46_15 Depth=2
	s_wait_alu 0xfffe
	s_or_b32 exec_lo, exec_lo, s28
	v_add_co_u32 v17, vcc_lo, v17, s6
	s_wait_alu 0xfffd
	v_add_co_ci_u32_e64 v18, null, s7, v18, vcc_lo
	s_add_co_i32 s24, s24, 1
	s_wait_alu 0xfffe
	s_cmp_ge_i32 s24, s3
	s_cbranch_scc1 .LBB46_22
.LBB46_15:                              ;   Parent Loop BB46_11 Depth=1
                                        ; =>  This Loop Header: Depth=2
                                        ;       Child Loop BB46_18 Depth 3
	s_and_saveexec_b32 s28, s0
	s_cbranch_execz .LBB46_14
; %bb.16:                               ;   in Loop: Header=BB46_15 Depth=2
	s_wait_alu 0xfffe
	s_ashr_i32 s25, s24, 31
	s_wait_dscnt 0x0
	v_mad_co_u64_u32 v[5:6], null, s6, s24, v[1:2]
	s_wait_alu 0xfffe
	s_lshl_b64 s[30:31], s[24:25], 2
	s_mul_i32 s25, s6, s25
	s_wait_alu 0xfffe
	s_add_nc_u64 s[30:31], s[8:9], s[30:31]
	v_dual_mov_b32 v19, v11 :: v_dual_mov_b32 v8, v4
	s_load_b32 s29, s[30:31], 0x0
	s_mul_i32 s30, s7, s24
	v_mov_b32_e32 v7, v3
	s_wait_alu 0xfffe
	v_add3_u32 v6, s25, s30, v6
	s_wait_kmcnt 0x0
	s_sub_co_i32 s25, s29, s2
	s_wait_alu 0xfffe
	s_mul_i32 s29, s25, s16
	s_mov_b32 s25, 0
	s_branch .LBB46_18
.LBB46_17:                              ;   in Loop: Header=BB46_18 Depth=3
	v_add_nc_u32_e32 v20, s29, v7
	v_add_co_u32 v9, vcc_lo, s10, v9
	s_wait_alu 0xfffd
	v_add_co_ci_u32_e64 v10, null, s11, v10, vcc_lo
	s_delay_alu instid0(VALU_DEP_3) | instskip(SKIP_3) | instid1(VALU_DEP_3)
	v_ashrrev_i32_e32 v21, 31, v20
	v_add_co_u32 v20, vcc_lo, s18, v20
	v_add_nc_u32_e32 v19, s21, v19
	s_wait_alu 0xfffd
	v_add_co_ci_u32_e64 v21, null, s19, v21, vcc_lo
	global_load_i8 v9, v[9:10], off
	global_load_i8 v10, v[20:21], off
	v_add_co_u32 v7, vcc_lo, v7, 16
	s_wait_alu 0xfffd
	v_add_co_ci_u32_e64 v8, null, 0, v8, vcc_lo
	s_delay_alu instid0(VALU_DEP_2)
	v_cmp_le_i32_e32 vcc_lo, s16, v7
	s_or_b32 s25, vcc_lo, s25
	s_wait_loadcnt 0x1
	v_cvt_f32_i32_e32 v9, v9
	s_wait_loadcnt 0x0
	v_cvt_f32_i32_e32 v10, v10
	s_delay_alu instid0(VALU_DEP_1)
	v_fmac_f32_e32 v16, v9, v10
	s_wait_alu 0xfffe
	s_and_not1_b32 exec_lo, exec_lo, s25
	s_cbranch_execz .LBB46_13
.LBB46_18:                              ;   Parent Loop BB46_11 Depth=1
                                        ;     Parent Loop BB46_15 Depth=2
                                        ; =>    This Inner Loop Header: Depth=3
	s_and_b32 vcc_lo, exec_lo, s15
	s_wait_alu 0xfffe
	s_cbranch_vccz .LBB46_20
; %bb.19:                               ;   in Loop: Header=BB46_18 Depth=3
	v_ashrrev_i32_e32 v10, 31, v19
	v_add_co_u32 v9, vcc_lo, v5, v19
	s_wait_alu 0xfffd
	s_delay_alu instid0(VALU_DEP_2)
	v_add_co_ci_u32_e64 v10, null, v6, v10, vcc_lo
	s_cbranch_execnz .LBB46_17
	s_branch .LBB46_21
.LBB46_20:                              ;   in Loop: Header=BB46_18 Depth=3
                                        ; implicit-def: $vgpr9_vgpr10
.LBB46_21:                              ;   in Loop: Header=BB46_18 Depth=3
	v_add_co_u32 v9, vcc_lo, v17, v7
	s_wait_alu 0xfffd
	v_add_co_ci_u32_e64 v10, null, v18, v8, vcc_lo
	s_branch .LBB46_17
.LBB46_22:                              ;   in Loop: Header=BB46_11 Depth=1
	ds_bpermute_b32 v5, v12, v16
	s_wait_dscnt 0x0
	v_add_f32_e32 v5, v16, v5
	ds_bpermute_b32 v6, v13, v5
	s_wait_dscnt 0x0
	v_add_f32_e32 v5, v5, v6
	ds_bpermute_b32 v6, v14, v5
	s_wait_dscnt 0x0
	v_add_f32_e32 v5, v5, v6
	ds_bpermute_b32 v6, v15, v5
	s_and_saveexec_b32 s24, s1
	s_cbranch_execz .LBB46_10
; %bb.23:                               ;   in Loop: Header=BB46_11 Depth=1
	s_wait_dscnt 0x0
	v_dual_add_f32 v6, v5, v6 :: v_dual_add_nc_u32 v5, s27, v1
	s_and_b32 vcc_lo, exec_lo, s26
	s_delay_alu instid0(VALU_DEP_1) | instskip(NEXT) | instid1(VALU_DEP_2)
	v_mul_f32_e32 v7, s12, v6
	v_ashrrev_i32_e32 v6, 31, v5
	s_wait_alu 0xfffe
	s_cbranch_vccz .LBB46_25
; %bb.24:                               ;   in Loop: Header=BB46_11 Depth=1
	s_delay_alu instid0(VALU_DEP_1) | instskip(NEXT) | instid1(VALU_DEP_1)
	v_lshlrev_b64_e32 v[8:9], 2, v[5:6]
	v_add_co_u32 v8, vcc_lo, s4, v8
	s_wait_alu 0xfffd
	s_delay_alu instid0(VALU_DEP_2)
	v_add_co_ci_u32_e64 v9, null, s5, v9, vcc_lo
	global_store_b32 v[8:9], v7, off
	s_cbranch_execnz .LBB46_10
	s_branch .LBB46_26
.LBB46_25:                              ;   in Loop: Header=BB46_11 Depth=1
.LBB46_26:                              ;   in Loop: Header=BB46_11 Depth=1
	s_delay_alu instid0(VALU_DEP_1) | instskip(NEXT) | instid1(VALU_DEP_1)
	v_lshlrev_b64_e32 v[5:6], 2, v[5:6]
	v_add_co_u32 v5, vcc_lo, s4, v5
	s_wait_alu 0xfffd
	s_delay_alu instid0(VALU_DEP_2)
	v_add_co_ci_u32_e64 v6, null, s5, v6, vcc_lo
	global_load_b32 v8, v[5:6], off
	s_wait_loadcnt 0x0
	v_fmac_f32_e32 v7, s14, v8
	global_store_b32 v[5:6], v7, off
	s_branch .LBB46_10
.LBB46_27:
	s_endpgm
	.section	.rodata,"a",@progbits
	.p2align	6, 0x0
	.amdhsa_kernel _ZN9rocsparseL22bsrxmvn_general_kernelILj256ELj16EfiiaafEEv20rocsparse_direction_NS_24const_host_device_scalarIT1_EET3_PKS5_PKT2_SA_S7_PKT4_S5_PKT5_S4_PT6_21rocsparse_index_base_b
		.amdhsa_group_segment_fixed_size 0
		.amdhsa_private_segment_fixed_size 0
		.amdhsa_kernarg_size 104
		.amdhsa_user_sgpr_count 2
		.amdhsa_user_sgpr_dispatch_ptr 0
		.amdhsa_user_sgpr_queue_ptr 0
		.amdhsa_user_sgpr_kernarg_segment_ptr 1
		.amdhsa_user_sgpr_dispatch_id 0
		.amdhsa_user_sgpr_private_segment_size 0
		.amdhsa_wavefront_size32 1
		.amdhsa_uses_dynamic_stack 0
		.amdhsa_enable_private_segment 0
		.amdhsa_system_sgpr_workgroup_id_x 1
		.amdhsa_system_sgpr_workgroup_id_y 0
		.amdhsa_system_sgpr_workgroup_id_z 0
		.amdhsa_system_sgpr_workgroup_info 0
		.amdhsa_system_vgpr_workitem_id 0
		.amdhsa_next_free_vgpr 22
		.amdhsa_next_free_sgpr 32
		.amdhsa_reserve_vcc 1
		.amdhsa_float_round_mode_32 0
		.amdhsa_float_round_mode_16_64 0
		.amdhsa_float_denorm_mode_32 3
		.amdhsa_float_denorm_mode_16_64 3
		.amdhsa_fp16_overflow 0
		.amdhsa_workgroup_processor_mode 1
		.amdhsa_memory_ordered 1
		.amdhsa_forward_progress 1
		.amdhsa_inst_pref_size 10
		.amdhsa_round_robin_scheduling 0
		.amdhsa_exception_fp_ieee_invalid_op 0
		.amdhsa_exception_fp_denorm_src 0
		.amdhsa_exception_fp_ieee_div_zero 0
		.amdhsa_exception_fp_ieee_overflow 0
		.amdhsa_exception_fp_ieee_underflow 0
		.amdhsa_exception_fp_ieee_inexact 0
		.amdhsa_exception_int_div_zero 0
	.end_amdhsa_kernel
	.section	.text._ZN9rocsparseL22bsrxmvn_general_kernelILj256ELj16EfiiaafEEv20rocsparse_direction_NS_24const_host_device_scalarIT1_EET3_PKS5_PKT2_SA_S7_PKT4_S5_PKT5_S4_PT6_21rocsparse_index_base_b,"axG",@progbits,_ZN9rocsparseL22bsrxmvn_general_kernelILj256ELj16EfiiaafEEv20rocsparse_direction_NS_24const_host_device_scalarIT1_EET3_PKS5_PKT2_SA_S7_PKT4_S5_PKT5_S4_PT6_21rocsparse_index_base_b,comdat
.Lfunc_end46:
	.size	_ZN9rocsparseL22bsrxmvn_general_kernelILj256ELj16EfiiaafEEv20rocsparse_direction_NS_24const_host_device_scalarIT1_EET3_PKS5_PKT2_SA_S7_PKT4_S5_PKT5_S4_PT6_21rocsparse_index_base_b, .Lfunc_end46-_ZN9rocsparseL22bsrxmvn_general_kernelILj256ELj16EfiiaafEEv20rocsparse_direction_NS_24const_host_device_scalarIT1_EET3_PKS5_PKT2_SA_S7_PKT4_S5_PKT5_S4_PT6_21rocsparse_index_base_b
                                        ; -- End function
	.set _ZN9rocsparseL22bsrxmvn_general_kernelILj256ELj16EfiiaafEEv20rocsparse_direction_NS_24const_host_device_scalarIT1_EET3_PKS5_PKT2_SA_S7_PKT4_S5_PKT5_S4_PT6_21rocsparse_index_base_b.num_vgpr, 22
	.set _ZN9rocsparseL22bsrxmvn_general_kernelILj256ELj16EfiiaafEEv20rocsparse_direction_NS_24const_host_device_scalarIT1_EET3_PKS5_PKT2_SA_S7_PKT4_S5_PKT5_S4_PT6_21rocsparse_index_base_b.num_agpr, 0
	.set _ZN9rocsparseL22bsrxmvn_general_kernelILj256ELj16EfiiaafEEv20rocsparse_direction_NS_24const_host_device_scalarIT1_EET3_PKS5_PKT2_SA_S7_PKT4_S5_PKT5_S4_PT6_21rocsparse_index_base_b.numbered_sgpr, 32
	.set _ZN9rocsparseL22bsrxmvn_general_kernelILj256ELj16EfiiaafEEv20rocsparse_direction_NS_24const_host_device_scalarIT1_EET3_PKS5_PKT2_SA_S7_PKT4_S5_PKT5_S4_PT6_21rocsparse_index_base_b.num_named_barrier, 0
	.set _ZN9rocsparseL22bsrxmvn_general_kernelILj256ELj16EfiiaafEEv20rocsparse_direction_NS_24const_host_device_scalarIT1_EET3_PKS5_PKT2_SA_S7_PKT4_S5_PKT5_S4_PT6_21rocsparse_index_base_b.private_seg_size, 0
	.set _ZN9rocsparseL22bsrxmvn_general_kernelILj256ELj16EfiiaafEEv20rocsparse_direction_NS_24const_host_device_scalarIT1_EET3_PKS5_PKT2_SA_S7_PKT4_S5_PKT5_S4_PT6_21rocsparse_index_base_b.uses_vcc, 1
	.set _ZN9rocsparseL22bsrxmvn_general_kernelILj256ELj16EfiiaafEEv20rocsparse_direction_NS_24const_host_device_scalarIT1_EET3_PKS5_PKT2_SA_S7_PKT4_S5_PKT5_S4_PT6_21rocsparse_index_base_b.uses_flat_scratch, 0
	.set _ZN9rocsparseL22bsrxmvn_general_kernelILj256ELj16EfiiaafEEv20rocsparse_direction_NS_24const_host_device_scalarIT1_EET3_PKS5_PKT2_SA_S7_PKT4_S5_PKT5_S4_PT6_21rocsparse_index_base_b.has_dyn_sized_stack, 0
	.set _ZN9rocsparseL22bsrxmvn_general_kernelILj256ELj16EfiiaafEEv20rocsparse_direction_NS_24const_host_device_scalarIT1_EET3_PKS5_PKT2_SA_S7_PKT4_S5_PKT5_S4_PT6_21rocsparse_index_base_b.has_recursion, 0
	.set _ZN9rocsparseL22bsrxmvn_general_kernelILj256ELj16EfiiaafEEv20rocsparse_direction_NS_24const_host_device_scalarIT1_EET3_PKS5_PKT2_SA_S7_PKT4_S5_PKT5_S4_PT6_21rocsparse_index_base_b.has_indirect_call, 0
	.section	.AMDGPU.csdata,"",@progbits
; Kernel info:
; codeLenInByte = 1204
; TotalNumSgprs: 34
; NumVgprs: 22
; ScratchSize: 0
; MemoryBound: 0
; FloatMode: 240
; IeeeMode: 1
; LDSByteSize: 0 bytes/workgroup (compile time only)
; SGPRBlocks: 0
; VGPRBlocks: 2
; NumSGPRsForWavesPerEU: 34
; NumVGPRsForWavesPerEU: 22
; Occupancy: 16
; WaveLimiterHint : 1
; COMPUTE_PGM_RSRC2:SCRATCH_EN: 0
; COMPUTE_PGM_RSRC2:USER_SGPR: 2
; COMPUTE_PGM_RSRC2:TRAP_HANDLER: 0
; COMPUTE_PGM_RSRC2:TGID_X_EN: 1
; COMPUTE_PGM_RSRC2:TGID_Y_EN: 0
; COMPUTE_PGM_RSRC2:TGID_Z_EN: 0
; COMPUTE_PGM_RSRC2:TIDIG_COMP_CNT: 0
	.section	.text._ZN9rocsparseL22bsrxmvn_general_kernelILj1024ELj32EfiiaafEEv20rocsparse_direction_NS_24const_host_device_scalarIT1_EET3_PKS5_PKT2_SA_S7_PKT4_S5_PKT5_S4_PT6_21rocsparse_index_base_b,"axG",@progbits,_ZN9rocsparseL22bsrxmvn_general_kernelILj1024ELj32EfiiaafEEv20rocsparse_direction_NS_24const_host_device_scalarIT1_EET3_PKS5_PKT2_SA_S7_PKT4_S5_PKT5_S4_PT6_21rocsparse_index_base_b,comdat
	.globl	_ZN9rocsparseL22bsrxmvn_general_kernelILj1024ELj32EfiiaafEEv20rocsparse_direction_NS_24const_host_device_scalarIT1_EET3_PKS5_PKT2_SA_S7_PKT4_S5_PKT5_S4_PT6_21rocsparse_index_base_b ; -- Begin function _ZN9rocsparseL22bsrxmvn_general_kernelILj1024ELj32EfiiaafEEv20rocsparse_direction_NS_24const_host_device_scalarIT1_EET3_PKS5_PKT2_SA_S7_PKT4_S5_PKT5_S4_PT6_21rocsparse_index_base_b
	.p2align	8
	.type	_ZN9rocsparseL22bsrxmvn_general_kernelILj1024ELj32EfiiaafEEv20rocsparse_direction_NS_24const_host_device_scalarIT1_EET3_PKS5_PKT2_SA_S7_PKT4_S5_PKT5_S4_PT6_21rocsparse_index_base_b,@function
_ZN9rocsparseL22bsrxmvn_general_kernelILj1024ELj32EfiiaafEEv20rocsparse_direction_NS_24const_host_device_scalarIT1_EET3_PKS5_PKT2_SA_S7_PKT4_S5_PKT5_S4_PT6_21rocsparse_index_base_b: ; @_ZN9rocsparseL22bsrxmvn_general_kernelILj1024ELj32EfiiaafEEv20rocsparse_direction_NS_24const_host_device_scalarIT1_EET3_PKS5_PKT2_SA_S7_PKT4_S5_PKT5_S4_PT6_21rocsparse_index_base_b
; %bb.0:
	s_clause 0x2
	s_load_b64 s[2:3], s[0:1], 0x60
	s_load_b64 s[12:13], s[0:1], 0x8
	;; [unrolled: 1-line block ×3, first 2 shown]
	s_wait_kmcnt 0x0
	s_bitcmp1_b32 s3, 0
	s_cselect_b32 s3, -1, 0
	s_delay_alu instid0(SALU_CYCLE_1)
	s_and_b32 vcc_lo, exec_lo, s3
	s_xor_b32 s3, s3, -1
	s_cbranch_vccnz .LBB47_2
; %bb.1:
	s_load_b32 s12, s[12:13], 0x0
.LBB47_2:
	s_and_not1_b32 vcc_lo, exec_lo, s3
	s_cbranch_vccnz .LBB47_4
; %bb.3:
	s_load_b32 s14, s[14:15], 0x0
.LBB47_4:
	s_wait_kmcnt 0x0
	s_cmp_neq_f32 s12, 0
	s_cselect_b32 s3, -1, 0
	s_cmp_neq_f32 s14, 1.0
	s_cselect_b32 s4, -1, 0
	s_delay_alu instid0(SALU_CYCLE_1) | instskip(NEXT) | instid1(SALU_CYCLE_1)
	s_or_b32 s3, s3, s4
	s_and_not1_b32 vcc_lo, exec_lo, s3
	s_cbranch_vccnz .LBB47_27
; %bb.5:
	s_load_b64 s[4:5], s[0:1], 0x18
	s_wait_kmcnt 0x0
	s_cmp_eq_u64 s[4:5], 0
	s_cbranch_scc1 .LBB47_7
; %bb.6:
	s_mov_b32 s6, ttmp9
	s_ashr_i32 s7, ttmp9, 31
	s_delay_alu instid0(SALU_CYCLE_1) | instskip(NEXT) | instid1(SALU_CYCLE_1)
	s_lshl_b64 s[6:7], s[6:7], 2
	s_add_nc_u64 s[4:5], s[4:5], s[6:7]
	s_load_b32 s3, s[4:5], 0x0
	s_wait_kmcnt 0x0
	s_sub_co_i32 s22, s3, s2
	s_branch .LBB47_8
.LBB47_7:
	s_mov_b32 s22, ttmp9
.LBB47_8:
	s_load_b32 s16, s[0:1], 0x40
	v_lshrrev_b32_e32 v1, 5, v0
	s_mov_b32 s3, exec_lo
	s_wait_kmcnt 0x0
	s_delay_alu instid0(VALU_DEP_1)
	v_cmpx_gt_i32_e64 s16, v1
	s_cbranch_execz .LBB47_27
; %bb.9:
	s_load_b256 s[4:11], s[0:1], 0x20
	s_ashr_i32 s23, s22, 31
	v_mbcnt_lo_u32_b32 v5, -1, 0
	s_lshl_b64 s[20:21], s[22:23], 2
	s_load_b32 s15, s[0:1], 0x0
	v_dual_mov_b32 v2, 0 :: v_dual_and_b32 v3, 31, v0
	s_delay_alu instid0(VALU_DEP_2)
	v_xor_b32_e32 v6, 16, v5
	v_xor_b32_e32 v7, 8, v5
	;; [unrolled: 1-line block ×5, first 2 shown]
	v_cmp_gt_i32_e32 vcc_lo, 32, v6
	v_mul_lo_u32 v0, s16, v1
	v_mul_lo_u32 v11, s16, v3
	s_mov_b32 s17, 0
	s_mul_i32 s27, s22, s16
	v_cndmask_b32_e32 v6, v5, v6, vcc_lo
	v_cmp_gt_i32_e32 vcc_lo, 32, v7
	v_mov_b32_e32 v4, v2
	s_wait_kmcnt 0x0
	s_add_nc_u64 s[24:25], s[4:5], s[20:21]
	s_load_b32 s13, s[24:25], 0x0
	s_clause 0x1
	s_load_b64 s[4:5], s[0:1], 0x58
	s_load_b64 s[18:19], s[0:1], 0x48
	s_add_nc_u64 s[0:1], s[6:7], s[20:21]
	s_add_nc_u64 s[24:25], s[24:25], 4
	v_cndmask_b32_e32 v7, v5, v7, vcc_lo
	v_cmp_gt_i32_e32 vcc_lo, 32, v8
	s_wait_alu 0xfffd
	s_delay_alu instid0(VALU_DEP_2)
	v_dual_cndmask_b32 v8, v5, v8 :: v_dual_lshlrev_b32 v13, 2, v7
	v_cmp_gt_i32_e32 vcc_lo, 32, v9
	s_wait_alu 0xfffd
	v_dual_cndmask_b32 v9, v5, v9 :: v_dual_lshlrev_b32 v12, 2, v6
	v_cmp_gt_i32_e32 vcc_lo, 32, v10
	s_wait_kmcnt 0x0
	s_sub_co_i32 s20, s13, s2
	s_cmp_eq_u64 s[6:7], 0
	v_lshlrev_b32_e32 v15, 2, v9
	s_cselect_b32 s25, s25, s1
	s_cselect_b32 s24, s24, s0
	s_wait_alu 0xfffd
	v_dual_cndmask_b32 v5, v5, v10 :: v_dual_lshlrev_b32 v14, 2, v8
	s_load_b32 s21, s[24:25], 0x0
	v_cmp_gt_u32_e64 s0, s16, v3
	v_cmp_eq_u32_e64 s1, 31, v3
	s_delay_alu instid0(VALU_DEP_3)
	v_lshlrev_b32_e32 v16, 2, v5
	s_mul_u64 s[6:7], s[16:17], s[16:17]
	s_wait_kmcnt 0x0
	s_sub_co_i32 s3, s21, s2
	s_cmp_lt_i32 s13, s21
	s_cselect_b32 s13, -1, 0
	s_cmp_lg_u32 s15, 0
	s_cselect_b32 s15, -1, 0
	s_cmp_eq_f32 s14, 0
	s_cselect_b32 s26, -1, 0
	s_ashr_i32 s21, s20, 31
	s_delay_alu instid0(SALU_CYCLE_1)
	s_mul_u64 s[22:23], s[20:21], s[6:7]
	s_lshl_b32 s21, s16, 5
	s_branch .LBB47_11
.LBB47_10:                              ;   in Loop: Header=BB47_11 Depth=1
	s_wait_alu 0xfffe
	s_or_b32 exec_lo, exec_lo, s24
	v_add_nc_u32_e32 v1, 32, v1
	v_add_nc_u32_e32 v0, s21, v0
	s_delay_alu instid0(VALU_DEP_2)
	v_cmp_le_i32_e32 vcc_lo, s16, v1
	s_or_b32 s17, vcc_lo, s17
	s_wait_alu 0xfffe
	s_and_not1_b32 exec_lo, exec_lo, s17
	s_cbranch_execz .LBB47_27
.LBB47_11:                              ; =>This Loop Header: Depth=1
                                        ;     Child Loop BB47_15 Depth 2
                                        ;       Child Loop BB47_18 Depth 3
	v_mov_b32_e32 v17, 0
	s_and_not1_b32 vcc_lo, exec_lo, s13
	s_wait_alu 0xfffe
	s_cbranch_vccnz .LBB47_22
; %bb.12:                               ;   in Loop: Header=BB47_11 Depth=1
	v_ashrrev_i32_e32 v5, 31, v0
	v_add_co_u32 v18, vcc_lo, s22, v0
	v_mov_b32_e32 v17, 0
	s_mov_b32 s24, s20
	s_wait_alu 0xfffd
	v_add_co_ci_u32_e64 v19, null, s23, v5, vcc_lo
	s_branch .LBB47_15
.LBB47_13:                              ;   in Loop: Header=BB47_15 Depth=2
	s_or_b32 exec_lo, exec_lo, s25
.LBB47_14:                              ;   in Loop: Header=BB47_15 Depth=2
	s_wait_alu 0xfffe
	s_or_b32 exec_lo, exec_lo, s28
	v_add_co_u32 v18, vcc_lo, v18, s6
	s_wait_alu 0xfffd
	v_add_co_ci_u32_e64 v19, null, s7, v19, vcc_lo
	s_add_co_i32 s24, s24, 1
	s_wait_alu 0xfffe
	s_cmp_ge_i32 s24, s3
	s_cbranch_scc1 .LBB47_22
.LBB47_15:                              ;   Parent Loop BB47_11 Depth=1
                                        ; =>  This Loop Header: Depth=2
                                        ;       Child Loop BB47_18 Depth 3
	s_and_saveexec_b32 s28, s0
	s_cbranch_execz .LBB47_14
; %bb.16:                               ;   in Loop: Header=BB47_15 Depth=2
	s_wait_alu 0xfffe
	s_ashr_i32 s25, s24, 31
	s_wait_dscnt 0x0
	v_mad_co_u64_u32 v[5:6], null, s6, s24, v[1:2]
	s_wait_alu 0xfffe
	s_lshl_b64 s[30:31], s[24:25], 2
	s_mul_i32 s25, s6, s25
	s_wait_alu 0xfffe
	s_add_nc_u64 s[30:31], s[8:9], s[30:31]
	v_mov_b32_e32 v8, v4
	s_load_b32 s29, s[30:31], 0x0
	s_mul_i32 s30, s7, s24
	v_dual_mov_b32 v20, v11 :: v_dual_mov_b32 v7, v3
	s_wait_alu 0xfffe
	v_add3_u32 v6, s25, s30, v6
	s_wait_kmcnt 0x0
	s_sub_co_i32 s25, s29, s2
	s_wait_alu 0xfffe
	s_mul_i32 s29, s25, s16
	s_mov_b32 s25, 0
	s_branch .LBB47_18
.LBB47_17:                              ;   in Loop: Header=BB47_18 Depth=3
	v_add_nc_u32_e32 v21, s29, v7
	v_add_co_u32 v9, vcc_lo, s10, v9
	s_wait_alu 0xfffd
	v_add_co_ci_u32_e64 v10, null, s11, v10, vcc_lo
	s_delay_alu instid0(VALU_DEP_3) | instskip(SKIP_3) | instid1(VALU_DEP_3)
	v_ashrrev_i32_e32 v22, 31, v21
	v_add_co_u32 v21, vcc_lo, s18, v21
	v_add_nc_u32_e32 v20, s21, v20
	s_wait_alu 0xfffd
	v_add_co_ci_u32_e64 v22, null, s19, v22, vcc_lo
	global_load_i8 v9, v[9:10], off
	global_load_i8 v10, v[21:22], off
	v_add_co_u32 v7, vcc_lo, v7, 32
	s_wait_alu 0xfffd
	v_add_co_ci_u32_e64 v8, null, 0, v8, vcc_lo
	s_delay_alu instid0(VALU_DEP_2)
	v_cmp_le_i32_e32 vcc_lo, s16, v7
	s_or_b32 s25, vcc_lo, s25
	s_wait_loadcnt 0x1
	v_cvt_f32_i32_e32 v9, v9
	s_wait_loadcnt 0x0
	v_cvt_f32_i32_e32 v10, v10
	s_delay_alu instid0(VALU_DEP_1)
	v_fmac_f32_e32 v17, v9, v10
	s_wait_alu 0xfffe
	s_and_not1_b32 exec_lo, exec_lo, s25
	s_cbranch_execz .LBB47_13
.LBB47_18:                              ;   Parent Loop BB47_11 Depth=1
                                        ;     Parent Loop BB47_15 Depth=2
                                        ; =>    This Inner Loop Header: Depth=3
	s_and_b32 vcc_lo, exec_lo, s15
	s_wait_alu 0xfffe
	s_cbranch_vccz .LBB47_20
; %bb.19:                               ;   in Loop: Header=BB47_18 Depth=3
	v_ashrrev_i32_e32 v10, 31, v20
	v_add_co_u32 v9, vcc_lo, v5, v20
	s_wait_alu 0xfffd
	s_delay_alu instid0(VALU_DEP_2)
	v_add_co_ci_u32_e64 v10, null, v6, v10, vcc_lo
	s_cbranch_execnz .LBB47_17
	s_branch .LBB47_21
.LBB47_20:                              ;   in Loop: Header=BB47_18 Depth=3
                                        ; implicit-def: $vgpr9_vgpr10
.LBB47_21:                              ;   in Loop: Header=BB47_18 Depth=3
	v_add_co_u32 v9, vcc_lo, v18, v7
	s_wait_alu 0xfffd
	v_add_co_ci_u32_e64 v10, null, v19, v8, vcc_lo
	s_branch .LBB47_17
.LBB47_22:                              ;   in Loop: Header=BB47_11 Depth=1
	ds_bpermute_b32 v5, v12, v17
	s_wait_dscnt 0x0
	v_add_f32_e32 v5, v17, v5
	ds_bpermute_b32 v6, v13, v5
	s_wait_dscnt 0x0
	v_add_f32_e32 v5, v5, v6
	;; [unrolled: 3-line block ×4, first 2 shown]
	ds_bpermute_b32 v6, v16, v5
	s_and_saveexec_b32 s24, s1
	s_cbranch_execz .LBB47_10
; %bb.23:                               ;   in Loop: Header=BB47_11 Depth=1
	s_wait_dscnt 0x0
	v_dual_add_f32 v6, v5, v6 :: v_dual_add_nc_u32 v5, s27, v1
	s_and_b32 vcc_lo, exec_lo, s26
	s_delay_alu instid0(VALU_DEP_1) | instskip(NEXT) | instid1(VALU_DEP_2)
	v_mul_f32_e32 v7, s12, v6
	v_ashrrev_i32_e32 v6, 31, v5
	s_wait_alu 0xfffe
	s_cbranch_vccz .LBB47_25
; %bb.24:                               ;   in Loop: Header=BB47_11 Depth=1
	s_delay_alu instid0(VALU_DEP_1) | instskip(NEXT) | instid1(VALU_DEP_1)
	v_lshlrev_b64_e32 v[8:9], 2, v[5:6]
	v_add_co_u32 v8, vcc_lo, s4, v8
	s_wait_alu 0xfffd
	s_delay_alu instid0(VALU_DEP_2)
	v_add_co_ci_u32_e64 v9, null, s5, v9, vcc_lo
	global_store_b32 v[8:9], v7, off
	s_cbranch_execnz .LBB47_10
	s_branch .LBB47_26
.LBB47_25:                              ;   in Loop: Header=BB47_11 Depth=1
.LBB47_26:                              ;   in Loop: Header=BB47_11 Depth=1
	s_delay_alu instid0(VALU_DEP_1) | instskip(NEXT) | instid1(VALU_DEP_1)
	v_lshlrev_b64_e32 v[5:6], 2, v[5:6]
	v_add_co_u32 v5, vcc_lo, s4, v5
	s_wait_alu 0xfffd
	s_delay_alu instid0(VALU_DEP_2)
	v_add_co_ci_u32_e64 v6, null, s5, v6, vcc_lo
	global_load_b32 v8, v[5:6], off
	s_wait_loadcnt 0x0
	v_fmac_f32_e32 v7, s14, v8
	global_store_b32 v[5:6], v7, off
	s_branch .LBB47_10
.LBB47_27:
	s_endpgm
	.section	.rodata,"a",@progbits
	.p2align	6, 0x0
	.amdhsa_kernel _ZN9rocsparseL22bsrxmvn_general_kernelILj1024ELj32EfiiaafEEv20rocsparse_direction_NS_24const_host_device_scalarIT1_EET3_PKS5_PKT2_SA_S7_PKT4_S5_PKT5_S4_PT6_21rocsparse_index_base_b
		.amdhsa_group_segment_fixed_size 0
		.amdhsa_private_segment_fixed_size 0
		.amdhsa_kernarg_size 104
		.amdhsa_user_sgpr_count 2
		.amdhsa_user_sgpr_dispatch_ptr 0
		.amdhsa_user_sgpr_queue_ptr 0
		.amdhsa_user_sgpr_kernarg_segment_ptr 1
		.amdhsa_user_sgpr_dispatch_id 0
		.amdhsa_user_sgpr_private_segment_size 0
		.amdhsa_wavefront_size32 1
		.amdhsa_uses_dynamic_stack 0
		.amdhsa_enable_private_segment 0
		.amdhsa_system_sgpr_workgroup_id_x 1
		.amdhsa_system_sgpr_workgroup_id_y 0
		.amdhsa_system_sgpr_workgroup_id_z 0
		.amdhsa_system_sgpr_workgroup_info 0
		.amdhsa_system_vgpr_workitem_id 0
		.amdhsa_next_free_vgpr 23
		.amdhsa_next_free_sgpr 32
		.amdhsa_reserve_vcc 1
		.amdhsa_float_round_mode_32 0
		.amdhsa_float_round_mode_16_64 0
		.amdhsa_float_denorm_mode_32 3
		.amdhsa_float_denorm_mode_16_64 3
		.amdhsa_fp16_overflow 0
		.amdhsa_workgroup_processor_mode 1
		.amdhsa_memory_ordered 1
		.amdhsa_forward_progress 1
		.amdhsa_inst_pref_size 10
		.amdhsa_round_robin_scheduling 0
		.amdhsa_exception_fp_ieee_invalid_op 0
		.amdhsa_exception_fp_denorm_src 0
		.amdhsa_exception_fp_ieee_div_zero 0
		.amdhsa_exception_fp_ieee_overflow 0
		.amdhsa_exception_fp_ieee_underflow 0
		.amdhsa_exception_fp_ieee_inexact 0
		.amdhsa_exception_int_div_zero 0
	.end_amdhsa_kernel
	.section	.text._ZN9rocsparseL22bsrxmvn_general_kernelILj1024ELj32EfiiaafEEv20rocsparse_direction_NS_24const_host_device_scalarIT1_EET3_PKS5_PKT2_SA_S7_PKT4_S5_PKT5_S4_PT6_21rocsparse_index_base_b,"axG",@progbits,_ZN9rocsparseL22bsrxmvn_general_kernelILj1024ELj32EfiiaafEEv20rocsparse_direction_NS_24const_host_device_scalarIT1_EET3_PKS5_PKT2_SA_S7_PKT4_S5_PKT5_S4_PT6_21rocsparse_index_base_b,comdat
.Lfunc_end47:
	.size	_ZN9rocsparseL22bsrxmvn_general_kernelILj1024ELj32EfiiaafEEv20rocsparse_direction_NS_24const_host_device_scalarIT1_EET3_PKS5_PKT2_SA_S7_PKT4_S5_PKT5_S4_PT6_21rocsparse_index_base_b, .Lfunc_end47-_ZN9rocsparseL22bsrxmvn_general_kernelILj1024ELj32EfiiaafEEv20rocsparse_direction_NS_24const_host_device_scalarIT1_EET3_PKS5_PKT2_SA_S7_PKT4_S5_PKT5_S4_PT6_21rocsparse_index_base_b
                                        ; -- End function
	.set _ZN9rocsparseL22bsrxmvn_general_kernelILj1024ELj32EfiiaafEEv20rocsparse_direction_NS_24const_host_device_scalarIT1_EET3_PKS5_PKT2_SA_S7_PKT4_S5_PKT5_S4_PT6_21rocsparse_index_base_b.num_vgpr, 23
	.set _ZN9rocsparseL22bsrxmvn_general_kernelILj1024ELj32EfiiaafEEv20rocsparse_direction_NS_24const_host_device_scalarIT1_EET3_PKS5_PKT2_SA_S7_PKT4_S5_PKT5_S4_PT6_21rocsparse_index_base_b.num_agpr, 0
	.set _ZN9rocsparseL22bsrxmvn_general_kernelILj1024ELj32EfiiaafEEv20rocsparse_direction_NS_24const_host_device_scalarIT1_EET3_PKS5_PKT2_SA_S7_PKT4_S5_PKT5_S4_PT6_21rocsparse_index_base_b.numbered_sgpr, 32
	.set _ZN9rocsparseL22bsrxmvn_general_kernelILj1024ELj32EfiiaafEEv20rocsparse_direction_NS_24const_host_device_scalarIT1_EET3_PKS5_PKT2_SA_S7_PKT4_S5_PKT5_S4_PT6_21rocsparse_index_base_b.num_named_barrier, 0
	.set _ZN9rocsparseL22bsrxmvn_general_kernelILj1024ELj32EfiiaafEEv20rocsparse_direction_NS_24const_host_device_scalarIT1_EET3_PKS5_PKT2_SA_S7_PKT4_S5_PKT5_S4_PT6_21rocsparse_index_base_b.private_seg_size, 0
	.set _ZN9rocsparseL22bsrxmvn_general_kernelILj1024ELj32EfiiaafEEv20rocsparse_direction_NS_24const_host_device_scalarIT1_EET3_PKS5_PKT2_SA_S7_PKT4_S5_PKT5_S4_PT6_21rocsparse_index_base_b.uses_vcc, 1
	.set _ZN9rocsparseL22bsrxmvn_general_kernelILj1024ELj32EfiiaafEEv20rocsparse_direction_NS_24const_host_device_scalarIT1_EET3_PKS5_PKT2_SA_S7_PKT4_S5_PKT5_S4_PT6_21rocsparse_index_base_b.uses_flat_scratch, 0
	.set _ZN9rocsparseL22bsrxmvn_general_kernelILj1024ELj32EfiiaafEEv20rocsparse_direction_NS_24const_host_device_scalarIT1_EET3_PKS5_PKT2_SA_S7_PKT4_S5_PKT5_S4_PT6_21rocsparse_index_base_b.has_dyn_sized_stack, 0
	.set _ZN9rocsparseL22bsrxmvn_general_kernelILj1024ELj32EfiiaafEEv20rocsparse_direction_NS_24const_host_device_scalarIT1_EET3_PKS5_PKT2_SA_S7_PKT4_S5_PKT5_S4_PT6_21rocsparse_index_base_b.has_recursion, 0
	.set _ZN9rocsparseL22bsrxmvn_general_kernelILj1024ELj32EfiiaafEEv20rocsparse_direction_NS_24const_host_device_scalarIT1_EET3_PKS5_PKT2_SA_S7_PKT4_S5_PKT5_S4_PT6_21rocsparse_index_base_b.has_indirect_call, 0
	.section	.AMDGPU.csdata,"",@progbits
; Kernel info:
; codeLenInByte = 1240
; TotalNumSgprs: 34
; NumVgprs: 23
; ScratchSize: 0
; MemoryBound: 0
; FloatMode: 240
; IeeeMode: 1
; LDSByteSize: 0 bytes/workgroup (compile time only)
; SGPRBlocks: 0
; VGPRBlocks: 2
; NumSGPRsForWavesPerEU: 34
; NumVGPRsForWavesPerEU: 23
; Occupancy: 16
; WaveLimiterHint : 1
; COMPUTE_PGM_RSRC2:SCRATCH_EN: 0
; COMPUTE_PGM_RSRC2:USER_SGPR: 2
; COMPUTE_PGM_RSRC2:TRAP_HANDLER: 0
; COMPUTE_PGM_RSRC2:TGID_X_EN: 1
; COMPUTE_PGM_RSRC2:TGID_Y_EN: 0
; COMPUTE_PGM_RSRC2:TGID_Z_EN: 0
; COMPUTE_PGM_RSRC2:TIDIG_COMP_CNT: 0
	.section	.text._ZN9rocsparseL22bsrxmvn_general_kernelILj64ELj8EfliaafEEv20rocsparse_direction_NS_24const_host_device_scalarIT1_EET3_PKS5_PKT2_SA_S7_PKT4_S5_PKT5_S4_PT6_21rocsparse_index_base_b,"axG",@progbits,_ZN9rocsparseL22bsrxmvn_general_kernelILj64ELj8EfliaafEEv20rocsparse_direction_NS_24const_host_device_scalarIT1_EET3_PKS5_PKT2_SA_S7_PKT4_S5_PKT5_S4_PT6_21rocsparse_index_base_b,comdat
	.globl	_ZN9rocsparseL22bsrxmvn_general_kernelILj64ELj8EfliaafEEv20rocsparse_direction_NS_24const_host_device_scalarIT1_EET3_PKS5_PKT2_SA_S7_PKT4_S5_PKT5_S4_PT6_21rocsparse_index_base_b ; -- Begin function _ZN9rocsparseL22bsrxmvn_general_kernelILj64ELj8EfliaafEEv20rocsparse_direction_NS_24const_host_device_scalarIT1_EET3_PKS5_PKT2_SA_S7_PKT4_S5_PKT5_S4_PT6_21rocsparse_index_base_b
	.p2align	8
	.type	_ZN9rocsparseL22bsrxmvn_general_kernelILj64ELj8EfliaafEEv20rocsparse_direction_NS_24const_host_device_scalarIT1_EET3_PKS5_PKT2_SA_S7_PKT4_S5_PKT5_S4_PT6_21rocsparse_index_base_b,@function
_ZN9rocsparseL22bsrxmvn_general_kernelILj64ELj8EfliaafEEv20rocsparse_direction_NS_24const_host_device_scalarIT1_EET3_PKS5_PKT2_SA_S7_PKT4_S5_PKT5_S4_PT6_21rocsparse_index_base_b: ; @_ZN9rocsparseL22bsrxmvn_general_kernelILj64ELj8EfliaafEEv20rocsparse_direction_NS_24const_host_device_scalarIT1_EET3_PKS5_PKT2_SA_S7_PKT4_S5_PKT5_S4_PT6_21rocsparse_index_base_b
; %bb.0:
	s_clause 0x2
	s_load_b64 s[2:3], s[0:1], 0x60
	s_load_b64 s[12:13], s[0:1], 0x8
	;; [unrolled: 1-line block ×3, first 2 shown]
	s_wait_kmcnt 0x0
	s_bitcmp1_b32 s3, 0
	s_cselect_b32 s3, -1, 0
	s_delay_alu instid0(SALU_CYCLE_1)
	s_and_b32 vcc_lo, exec_lo, s3
	s_xor_b32 s3, s3, -1
	s_cbranch_vccnz .LBB48_2
; %bb.1:
	s_load_b32 s12, s[12:13], 0x0
.LBB48_2:
	s_and_not1_b32 vcc_lo, exec_lo, s3
	s_cbranch_vccnz .LBB48_4
; %bb.3:
	s_load_b32 s14, s[14:15], 0x0
.LBB48_4:
	s_wait_kmcnt 0x0
	s_cmp_neq_f32 s12, 0
	s_cselect_b32 s3, -1, 0
	s_cmp_neq_f32 s14, 1.0
	s_cselect_b32 s4, -1, 0
	s_delay_alu instid0(SALU_CYCLE_1) | instskip(NEXT) | instid1(SALU_CYCLE_1)
	s_or_b32 s3, s3, s4
	s_and_not1_b32 vcc_lo, exec_lo, s3
	s_cbranch_vccnz .LBB48_27
; %bb.5:
	s_load_b64 s[4:5], s[0:1], 0x18
	s_wait_kmcnt 0x0
	s_cmp_eq_u64 s[4:5], 0
	s_cbranch_scc1 .LBB48_7
; %bb.6:
	s_mov_b32 s6, ttmp9
	s_ashr_i32 s7, ttmp9, 31
	s_delay_alu instid0(SALU_CYCLE_1) | instskip(NEXT) | instid1(SALU_CYCLE_1)
	s_lshl_b64 s[6:7], s[6:7], 2
	s_add_nc_u64 s[4:5], s[4:5], s[6:7]
	s_load_b32 s3, s[4:5], 0x0
	s_wait_kmcnt 0x0
	s_sub_co_i32 s24, s3, s2
	s_branch .LBB48_8
.LBB48_7:
	s_mov_b32 s24, ttmp9
.LBB48_8:
	s_load_b32 s16, s[0:1], 0x40
	v_lshrrev_b32_e32 v1, 3, v0
	s_mov_b32 s3, exec_lo
	s_wait_kmcnt 0x0
	s_delay_alu instid0(VALU_DEP_1)
	v_cmpx_gt_i32_e64 s16, v1
	s_cbranch_execz .LBB48_27
; %bb.9:
	s_clause 0x2
	s_load_b256 s[4:11], s[0:1], 0x20
	s_load_b64 s[18:19], s[0:1], 0x58
	s_load_b64 s[20:21], s[0:1], 0x48
	s_ashr_i32 s25, s24, 31
	v_mbcnt_lo_u32_b32 v2, -1, 0
	s_load_b32 s13, s[0:1], 0x0
	s_lshl_b64 s[0:1], s[24:25], 3
	v_dual_mov_b32 v4, 0 :: v_dual_and_b32 v3, 7, v0
	s_delay_alu instid0(VALU_DEP_2)
	v_xor_b32_e32 v5, 4, v2
	v_xor_b32_e32 v6, 2, v2
	;; [unrolled: 1-line block ×3, first 2 shown]
	s_mov_b32 s3, 0
	v_mul_lo_u32 v0, s16, v1
	v_cmp_gt_i32_e32 vcc_lo, 32, v5
	s_mov_b32 s17, s3
	v_mul_lo_u32 v11, s16, v3
	s_wait_alu 0xfffe
	s_mul_u64 s[22:23], s[16:17], s[16:17]
	v_cndmask_b32_e32 v5, v2, v5, vcc_lo
	s_wait_kmcnt 0x0
	s_add_nc_u64 s[4:5], s[4:5], s[0:1]
	s_add_nc_u64 s[26:27], s[6:7], s[0:1]
	s_cmp_eq_u64 s[6:7], 0
	s_add_nc_u64 s[6:7], s[4:5], 8
	v_cmp_gt_i32_e32 vcc_lo, 32, v6
	s_cselect_b32 s7, s7, s27
	s_cselect_b32 s6, s6, s26
	s_load_b64 s[26:27], s[4:5], 0x0
	s_load_b64 s[28:29], s[6:7], 0x0
	s_cmp_lg_u32 s13, 0
	v_cndmask_b32_e32 v6, v2, v6, vcc_lo
	v_cmp_gt_i32_e32 vcc_lo, 32, v7
	s_cselect_b32 s13, -1, 0
	s_cmp_eq_f32 s14, 0
	v_cmp_gt_u32_e64 s0, s16, v3
	v_cmp_eq_u32_e64 s1, 7, v3
	s_wait_alu 0xfffd
	v_dual_cndmask_b32 v2, v2, v7 :: v_dual_lshlrev_b32 v13, 2, v6
	s_cselect_b32 s15, -1, 0
	s_delay_alu instid0(VALU_DEP_1)
	v_lshlrev_b32_e32 v14, 2, v2
	v_lshlrev_b32_e32 v12, 2, v5
	s_wait_kmcnt 0x0
	s_sub_nc_u64 s[4:5], s[26:27], s[2:3]
	v_cmp_lt_i64_e64 s17, s[26:27], s[28:29]
	s_sub_nc_u64 s[6:7], s[28:29], s[2:3]
	s_mul_i32 s28, s24, s16
	s_mul_u64 s[24:25], s[4:5], s[22:23]
	s_lshl_b32 s29, s16, 3
	s_branch .LBB48_11
.LBB48_10:                              ;   in Loop: Header=BB48_11 Depth=1
	s_wait_alu 0xfffe
	s_or_b32 exec_lo, exec_lo, s26
	v_add_nc_u32_e32 v1, 8, v1
	v_add_nc_u32_e32 v0, s29, v0
	s_delay_alu instid0(VALU_DEP_2) | instskip(SKIP_1) | instid1(SALU_CYCLE_1)
	v_cmp_le_i32_e32 vcc_lo, s16, v1
	s_or_b32 s3, vcc_lo, s3
	s_and_not1_b32 exec_lo, exec_lo, s3
	s_cbranch_execz .LBB48_27
.LBB48_11:                              ; =>This Loop Header: Depth=1
                                        ;     Child Loop BB48_15 Depth 2
                                        ;       Child Loop BB48_18 Depth 3
	v_mov_b32_e32 v15, 0
	s_and_not1_b32 vcc_lo, exec_lo, s17
	s_wait_alu 0xfffe
	s_cbranch_vccnz .LBB48_22
; %bb.12:                               ;   in Loop: Header=BB48_11 Depth=1
	s_wait_dscnt 0x0
	v_ashrrev_i32_e32 v5, 31, v0
	v_add_co_u32 v16, vcc_lo, s24, v0
	v_ashrrev_i32_e32 v2, 31, v1
	v_mov_b32_e32 v15, 0
	s_wait_alu 0xfffd
	v_add_co_ci_u32_e64 v17, null, s25, v5, vcc_lo
	s_mov_b64 s[26:27], s[4:5]
	s_branch .LBB48_15
.LBB48_13:                              ;   in Loop: Header=BB48_15 Depth=2
	s_or_b32 exec_lo, exec_lo, s31
.LBB48_14:                              ;   in Loop: Header=BB48_15 Depth=2
	s_delay_alu instid0(SALU_CYCLE_1)
	s_or_b32 exec_lo, exec_lo, s30
	s_wait_alu 0xfffe
	s_add_nc_u64 s[26:27], s[26:27], 1
	v_add_co_u32 v16, vcc_lo, v16, s22
	s_wait_alu 0xfffe
	v_cmp_ge_i64_e64 s30, s[26:27], s[6:7]
	s_wait_alu 0xfffd
	v_add_co_ci_u32_e64 v17, null, s23, v17, vcc_lo
	s_and_b32 vcc_lo, exec_lo, s30
	s_wait_alu 0xfffe
	s_cbranch_vccnz .LBB48_22
.LBB48_15:                              ;   Parent Loop BB48_11 Depth=1
                                        ; =>  This Loop Header: Depth=2
                                        ;       Child Loop BB48_18 Depth 3
	s_and_saveexec_b32 s30, s0
	s_cbranch_execz .LBB48_14
; %bb.16:                               ;   in Loop: Header=BB48_15 Depth=2
	s_wait_alu 0xfffe
	s_lshl_b64 s[34:35], s[26:27], 2
	v_mad_co_u64_u32 v[5:6], null, s22, s26, v[1:2]
	s_wait_alu 0xfffe
	s_add_nc_u64 s[34:35], s[8:9], s[34:35]
	s_mul_i32 s33, s23, s26
	s_load_b32 s31, s[34:35], 0x0
	s_mul_i32 s34, s22, s27
	v_mov_b32_e32 v8, v4
	v_dual_mov_b32 v18, v11 :: v_dual_mov_b32 v7, v3
	s_wait_alu 0xfffe
	v_add3_u32 v6, s34, s33, v6
	s_wait_kmcnt 0x0
	s_sub_co_i32 s31, s31, s2
	s_delay_alu instid0(SALU_CYCLE_1)
	s_mul_i32 s33, s31, s16
	s_mov_b32 s31, 0
	s_branch .LBB48_18
.LBB48_17:                              ;   in Loop: Header=BB48_18 Depth=3
	v_add_nc_u32_e32 v19, s33, v7
	v_add_co_u32 v9, vcc_lo, s10, v9
	s_wait_alu 0xfffd
	v_add_co_ci_u32_e64 v10, null, s11, v10, vcc_lo
	s_delay_alu instid0(VALU_DEP_3) | instskip(SKIP_3) | instid1(VALU_DEP_3)
	v_ashrrev_i32_e32 v20, 31, v19
	v_add_co_u32 v19, vcc_lo, s20, v19
	v_add_nc_u32_e32 v18, s29, v18
	s_wait_alu 0xfffd
	v_add_co_ci_u32_e64 v20, null, s21, v20, vcc_lo
	v_add_co_u32 v7, vcc_lo, v7, 8
	global_load_i8 v9, v[9:10], off
	global_load_i8 v10, v[19:20], off
	s_wait_alu 0xfffd
	v_add_co_ci_u32_e64 v8, null, 0, v8, vcc_lo
	v_cmp_le_i32_e32 vcc_lo, s16, v7
	s_or_b32 s31, vcc_lo, s31
	s_wait_loadcnt 0x1
	v_cvt_f32_i32_e32 v9, v9
	s_wait_loadcnt 0x0
	v_cvt_f32_i32_e32 v10, v10
	s_delay_alu instid0(VALU_DEP_1)
	v_fmac_f32_e32 v15, v9, v10
	s_and_not1_b32 exec_lo, exec_lo, s31
	s_cbranch_execz .LBB48_13
.LBB48_18:                              ;   Parent Loop BB48_11 Depth=1
                                        ;     Parent Loop BB48_15 Depth=2
                                        ; =>    This Inner Loop Header: Depth=3
	s_and_b32 vcc_lo, exec_lo, s13
	s_wait_alu 0xfffe
	s_cbranch_vccz .LBB48_20
; %bb.19:                               ;   in Loop: Header=BB48_18 Depth=3
	v_ashrrev_i32_e32 v10, 31, v18
	v_add_co_u32 v9, vcc_lo, v5, v18
	s_wait_alu 0xfffd
	s_delay_alu instid0(VALU_DEP_2)
	v_add_co_ci_u32_e64 v10, null, v6, v10, vcc_lo
	s_cbranch_execnz .LBB48_17
	s_branch .LBB48_21
.LBB48_20:                              ;   in Loop: Header=BB48_18 Depth=3
                                        ; implicit-def: $vgpr9_vgpr10
.LBB48_21:                              ;   in Loop: Header=BB48_18 Depth=3
	v_add_co_u32 v9, vcc_lo, v16, v7
	s_wait_alu 0xfffd
	v_add_co_ci_u32_e64 v10, null, v17, v8, vcc_lo
	s_branch .LBB48_17
.LBB48_22:                              ;   in Loop: Header=BB48_11 Depth=1
	ds_bpermute_b32 v2, v12, v15
	s_wait_dscnt 0x0
	v_add_f32_e32 v2, v15, v2
	ds_bpermute_b32 v5, v13, v2
	s_wait_dscnt 0x0
	v_add_f32_e32 v2, v2, v5
	ds_bpermute_b32 v5, v14, v2
	s_and_saveexec_b32 s26, s1
	s_cbranch_execz .LBB48_10
; %bb.23:                               ;   in Loop: Header=BB48_11 Depth=1
	s_wait_dscnt 0x0
	v_add_f32_e32 v2, v2, v5
	v_add_nc_u32_e32 v5, s28, v1
	s_and_b32 vcc_lo, exec_lo, s15
	s_delay_alu instid0(VALU_DEP_2) | instskip(NEXT) | instid1(VALU_DEP_2)
	v_mul_f32_e32 v2, s12, v2
	v_ashrrev_i32_e32 v6, 31, v5
	s_wait_alu 0xfffe
	s_cbranch_vccz .LBB48_25
; %bb.24:                               ;   in Loop: Header=BB48_11 Depth=1
	s_delay_alu instid0(VALU_DEP_1) | instskip(NEXT) | instid1(VALU_DEP_1)
	v_lshlrev_b64_e32 v[7:8], 2, v[5:6]
	v_add_co_u32 v7, vcc_lo, s18, v7
	s_wait_alu 0xfffd
	s_delay_alu instid0(VALU_DEP_2)
	v_add_co_ci_u32_e64 v8, null, s19, v8, vcc_lo
	global_store_b32 v[7:8], v2, off
	s_cbranch_execnz .LBB48_10
	s_branch .LBB48_26
.LBB48_25:                              ;   in Loop: Header=BB48_11 Depth=1
.LBB48_26:                              ;   in Loop: Header=BB48_11 Depth=1
	s_delay_alu instid0(VALU_DEP_1) | instskip(NEXT) | instid1(VALU_DEP_1)
	v_lshlrev_b64_e32 v[5:6], 2, v[5:6]
	v_add_co_u32 v5, vcc_lo, s18, v5
	s_wait_alu 0xfffd
	s_delay_alu instid0(VALU_DEP_2)
	v_add_co_ci_u32_e64 v6, null, s19, v6, vcc_lo
	global_load_b32 v7, v[5:6], off
	s_wait_loadcnt 0x0
	v_fmac_f32_e32 v2, s14, v7
	global_store_b32 v[5:6], v2, off
	s_branch .LBB48_10
.LBB48_27:
	s_endpgm
	.section	.rodata,"a",@progbits
	.p2align	6, 0x0
	.amdhsa_kernel _ZN9rocsparseL22bsrxmvn_general_kernelILj64ELj8EfliaafEEv20rocsparse_direction_NS_24const_host_device_scalarIT1_EET3_PKS5_PKT2_SA_S7_PKT4_S5_PKT5_S4_PT6_21rocsparse_index_base_b
		.amdhsa_group_segment_fixed_size 0
		.amdhsa_private_segment_fixed_size 0
		.amdhsa_kernarg_size 104
		.amdhsa_user_sgpr_count 2
		.amdhsa_user_sgpr_dispatch_ptr 0
		.amdhsa_user_sgpr_queue_ptr 0
		.amdhsa_user_sgpr_kernarg_segment_ptr 1
		.amdhsa_user_sgpr_dispatch_id 0
		.amdhsa_user_sgpr_private_segment_size 0
		.amdhsa_wavefront_size32 1
		.amdhsa_uses_dynamic_stack 0
		.amdhsa_enable_private_segment 0
		.amdhsa_system_sgpr_workgroup_id_x 1
		.amdhsa_system_sgpr_workgroup_id_y 0
		.amdhsa_system_sgpr_workgroup_id_z 0
		.amdhsa_system_sgpr_workgroup_info 0
		.amdhsa_system_vgpr_workitem_id 0
		.amdhsa_next_free_vgpr 21
		.amdhsa_next_free_sgpr 36
		.amdhsa_reserve_vcc 1
		.amdhsa_float_round_mode_32 0
		.amdhsa_float_round_mode_16_64 0
		.amdhsa_float_denorm_mode_32 3
		.amdhsa_float_denorm_mode_16_64 3
		.amdhsa_fp16_overflow 0
		.amdhsa_workgroup_processor_mode 1
		.amdhsa_memory_ordered 1
		.amdhsa_forward_progress 1
		.amdhsa_inst_pref_size 10
		.amdhsa_round_robin_scheduling 0
		.amdhsa_exception_fp_ieee_invalid_op 0
		.amdhsa_exception_fp_denorm_src 0
		.amdhsa_exception_fp_ieee_div_zero 0
		.amdhsa_exception_fp_ieee_overflow 0
		.amdhsa_exception_fp_ieee_underflow 0
		.amdhsa_exception_fp_ieee_inexact 0
		.amdhsa_exception_int_div_zero 0
	.end_amdhsa_kernel
	.section	.text._ZN9rocsparseL22bsrxmvn_general_kernelILj64ELj8EfliaafEEv20rocsparse_direction_NS_24const_host_device_scalarIT1_EET3_PKS5_PKT2_SA_S7_PKT4_S5_PKT5_S4_PT6_21rocsparse_index_base_b,"axG",@progbits,_ZN9rocsparseL22bsrxmvn_general_kernelILj64ELj8EfliaafEEv20rocsparse_direction_NS_24const_host_device_scalarIT1_EET3_PKS5_PKT2_SA_S7_PKT4_S5_PKT5_S4_PT6_21rocsparse_index_base_b,comdat
.Lfunc_end48:
	.size	_ZN9rocsparseL22bsrxmvn_general_kernelILj64ELj8EfliaafEEv20rocsparse_direction_NS_24const_host_device_scalarIT1_EET3_PKS5_PKT2_SA_S7_PKT4_S5_PKT5_S4_PT6_21rocsparse_index_base_b, .Lfunc_end48-_ZN9rocsparseL22bsrxmvn_general_kernelILj64ELj8EfliaafEEv20rocsparse_direction_NS_24const_host_device_scalarIT1_EET3_PKS5_PKT2_SA_S7_PKT4_S5_PKT5_S4_PT6_21rocsparse_index_base_b
                                        ; -- End function
	.set _ZN9rocsparseL22bsrxmvn_general_kernelILj64ELj8EfliaafEEv20rocsparse_direction_NS_24const_host_device_scalarIT1_EET3_PKS5_PKT2_SA_S7_PKT4_S5_PKT5_S4_PT6_21rocsparse_index_base_b.num_vgpr, 21
	.set _ZN9rocsparseL22bsrxmvn_general_kernelILj64ELj8EfliaafEEv20rocsparse_direction_NS_24const_host_device_scalarIT1_EET3_PKS5_PKT2_SA_S7_PKT4_S5_PKT5_S4_PT6_21rocsparse_index_base_b.num_agpr, 0
	.set _ZN9rocsparseL22bsrxmvn_general_kernelILj64ELj8EfliaafEEv20rocsparse_direction_NS_24const_host_device_scalarIT1_EET3_PKS5_PKT2_SA_S7_PKT4_S5_PKT5_S4_PT6_21rocsparse_index_base_b.numbered_sgpr, 36
	.set _ZN9rocsparseL22bsrxmvn_general_kernelILj64ELj8EfliaafEEv20rocsparse_direction_NS_24const_host_device_scalarIT1_EET3_PKS5_PKT2_SA_S7_PKT4_S5_PKT5_S4_PT6_21rocsparse_index_base_b.num_named_barrier, 0
	.set _ZN9rocsparseL22bsrxmvn_general_kernelILj64ELj8EfliaafEEv20rocsparse_direction_NS_24const_host_device_scalarIT1_EET3_PKS5_PKT2_SA_S7_PKT4_S5_PKT5_S4_PT6_21rocsparse_index_base_b.private_seg_size, 0
	.set _ZN9rocsparseL22bsrxmvn_general_kernelILj64ELj8EfliaafEEv20rocsparse_direction_NS_24const_host_device_scalarIT1_EET3_PKS5_PKT2_SA_S7_PKT4_S5_PKT5_S4_PT6_21rocsparse_index_base_b.uses_vcc, 1
	.set _ZN9rocsparseL22bsrxmvn_general_kernelILj64ELj8EfliaafEEv20rocsparse_direction_NS_24const_host_device_scalarIT1_EET3_PKS5_PKT2_SA_S7_PKT4_S5_PKT5_S4_PT6_21rocsparse_index_base_b.uses_flat_scratch, 0
	.set _ZN9rocsparseL22bsrxmvn_general_kernelILj64ELj8EfliaafEEv20rocsparse_direction_NS_24const_host_device_scalarIT1_EET3_PKS5_PKT2_SA_S7_PKT4_S5_PKT5_S4_PT6_21rocsparse_index_base_b.has_dyn_sized_stack, 0
	.set _ZN9rocsparseL22bsrxmvn_general_kernelILj64ELj8EfliaafEEv20rocsparse_direction_NS_24const_host_device_scalarIT1_EET3_PKS5_PKT2_SA_S7_PKT4_S5_PKT5_S4_PT6_21rocsparse_index_base_b.has_recursion, 0
	.set _ZN9rocsparseL22bsrxmvn_general_kernelILj64ELj8EfliaafEEv20rocsparse_direction_NS_24const_host_device_scalarIT1_EET3_PKS5_PKT2_SA_S7_PKT4_S5_PKT5_S4_PT6_21rocsparse_index_base_b.has_indirect_call, 0
	.section	.AMDGPU.csdata,"",@progbits
; Kernel info:
; codeLenInByte = 1156
; TotalNumSgprs: 38
; NumVgprs: 21
; ScratchSize: 0
; MemoryBound: 0
; FloatMode: 240
; IeeeMode: 1
; LDSByteSize: 0 bytes/workgroup (compile time only)
; SGPRBlocks: 0
; VGPRBlocks: 2
; NumSGPRsForWavesPerEU: 38
; NumVGPRsForWavesPerEU: 21
; Occupancy: 16
; WaveLimiterHint : 1
; COMPUTE_PGM_RSRC2:SCRATCH_EN: 0
; COMPUTE_PGM_RSRC2:USER_SGPR: 2
; COMPUTE_PGM_RSRC2:TRAP_HANDLER: 0
; COMPUTE_PGM_RSRC2:TGID_X_EN: 1
; COMPUTE_PGM_RSRC2:TGID_Y_EN: 0
; COMPUTE_PGM_RSRC2:TGID_Z_EN: 0
; COMPUTE_PGM_RSRC2:TIDIG_COMP_CNT: 0
	.section	.text._ZN9rocsparseL22bsrxmvn_general_kernelILj256ELj16EfliaafEEv20rocsparse_direction_NS_24const_host_device_scalarIT1_EET3_PKS5_PKT2_SA_S7_PKT4_S5_PKT5_S4_PT6_21rocsparse_index_base_b,"axG",@progbits,_ZN9rocsparseL22bsrxmvn_general_kernelILj256ELj16EfliaafEEv20rocsparse_direction_NS_24const_host_device_scalarIT1_EET3_PKS5_PKT2_SA_S7_PKT4_S5_PKT5_S4_PT6_21rocsparse_index_base_b,comdat
	.globl	_ZN9rocsparseL22bsrxmvn_general_kernelILj256ELj16EfliaafEEv20rocsparse_direction_NS_24const_host_device_scalarIT1_EET3_PKS5_PKT2_SA_S7_PKT4_S5_PKT5_S4_PT6_21rocsparse_index_base_b ; -- Begin function _ZN9rocsparseL22bsrxmvn_general_kernelILj256ELj16EfliaafEEv20rocsparse_direction_NS_24const_host_device_scalarIT1_EET3_PKS5_PKT2_SA_S7_PKT4_S5_PKT5_S4_PT6_21rocsparse_index_base_b
	.p2align	8
	.type	_ZN9rocsparseL22bsrxmvn_general_kernelILj256ELj16EfliaafEEv20rocsparse_direction_NS_24const_host_device_scalarIT1_EET3_PKS5_PKT2_SA_S7_PKT4_S5_PKT5_S4_PT6_21rocsparse_index_base_b,@function
_ZN9rocsparseL22bsrxmvn_general_kernelILj256ELj16EfliaafEEv20rocsparse_direction_NS_24const_host_device_scalarIT1_EET3_PKS5_PKT2_SA_S7_PKT4_S5_PKT5_S4_PT6_21rocsparse_index_base_b: ; @_ZN9rocsparseL22bsrxmvn_general_kernelILj256ELj16EfliaafEEv20rocsparse_direction_NS_24const_host_device_scalarIT1_EET3_PKS5_PKT2_SA_S7_PKT4_S5_PKT5_S4_PT6_21rocsparse_index_base_b
; %bb.0:
	s_clause 0x2
	s_load_b64 s[2:3], s[0:1], 0x60
	s_load_b64 s[12:13], s[0:1], 0x8
	;; [unrolled: 1-line block ×3, first 2 shown]
	s_wait_kmcnt 0x0
	s_bitcmp1_b32 s3, 0
	s_cselect_b32 s3, -1, 0
	s_delay_alu instid0(SALU_CYCLE_1)
	s_and_b32 vcc_lo, exec_lo, s3
	s_xor_b32 s3, s3, -1
	s_cbranch_vccnz .LBB49_2
; %bb.1:
	s_load_b32 s12, s[12:13], 0x0
.LBB49_2:
	s_and_not1_b32 vcc_lo, exec_lo, s3
	s_cbranch_vccnz .LBB49_4
; %bb.3:
	s_load_b32 s14, s[14:15], 0x0
.LBB49_4:
	s_wait_kmcnt 0x0
	s_cmp_neq_f32 s12, 0
	s_cselect_b32 s3, -1, 0
	s_cmp_neq_f32 s14, 1.0
	s_cselect_b32 s4, -1, 0
	s_delay_alu instid0(SALU_CYCLE_1) | instskip(NEXT) | instid1(SALU_CYCLE_1)
	s_or_b32 s3, s3, s4
	s_and_not1_b32 vcc_lo, exec_lo, s3
	s_cbranch_vccnz .LBB49_27
; %bb.5:
	s_load_b64 s[4:5], s[0:1], 0x18
	s_wait_kmcnt 0x0
	s_cmp_eq_u64 s[4:5], 0
	s_cbranch_scc1 .LBB49_7
; %bb.6:
	s_mov_b32 s6, ttmp9
	s_ashr_i32 s7, ttmp9, 31
	s_delay_alu instid0(SALU_CYCLE_1) | instskip(NEXT) | instid1(SALU_CYCLE_1)
	s_lshl_b64 s[6:7], s[6:7], 2
	s_add_nc_u64 s[4:5], s[4:5], s[6:7]
	s_load_b32 s3, s[4:5], 0x0
	s_wait_kmcnt 0x0
	s_sub_co_i32 s24, s3, s2
	s_branch .LBB49_8
.LBB49_7:
	s_mov_b32 s24, ttmp9
.LBB49_8:
	s_load_b32 s16, s[0:1], 0x40
	v_lshrrev_b32_e32 v1, 4, v0
	s_mov_b32 s3, exec_lo
	s_wait_kmcnt 0x0
	s_delay_alu instid0(VALU_DEP_1)
	v_cmpx_gt_i32_e64 s16, v1
	s_cbranch_execz .LBB49_27
; %bb.9:
	s_clause 0x2
	s_load_b256 s[4:11], s[0:1], 0x20
	s_load_b64 s[18:19], s[0:1], 0x58
	s_load_b64 s[20:21], s[0:1], 0x48
	v_mbcnt_lo_u32_b32 v2, -1, 0
	s_ashr_i32 s25, s24, 31
	s_load_b32 s13, s[0:1], 0x0
	s_lshl_b64 s[26:27], s[24:25], 3
	v_dual_mov_b32 v4, 0 :: v_dual_and_b32 v3, 15, v0
	v_xor_b32_e32 v5, 8, v2
	v_xor_b32_e32 v6, 4, v2
	;; [unrolled: 1-line block ×4, first 2 shown]
	s_mov_b32 s3, 0
	v_cmp_gt_i32_e32 vcc_lo, 32, v5
	v_mul_lo_u32 v0, s16, v1
	s_mov_b32 s17, s3
	v_mul_lo_u32 v11, s16, v3
	s_wait_alu 0xfffe
	s_mul_u64 s[22:23], s[16:17], s[16:17]
	v_cndmask_b32_e32 v5, v2, v5, vcc_lo
	s_wait_kmcnt 0x0
	s_add_nc_u64 s[4:5], s[4:5], s[26:27]
	s_add_nc_u64 s[26:27], s[6:7], s[26:27]
	s_cmp_eq_u64 s[6:7], 0
	s_add_nc_u64 s[6:7], s[4:5], 8
	v_cmp_gt_i32_e32 vcc_lo, 32, v6
	s_cselect_b32 s7, s7, s27
	s_cselect_b32 s6, s6, s26
	s_load_b64 s[26:27], s[4:5], 0x0
	s_load_b64 s[28:29], s[6:7], 0x0
	s_cmp_lg_u32 s13, 0
	v_cndmask_b32_e32 v6, v2, v6, vcc_lo
	v_cmp_gt_i32_e32 vcc_lo, 32, v7
	s_cselect_b32 s13, -1, 0
	s_cmp_eq_f32 s14, 0
	v_cmp_gt_u32_e64 s0, s16, v3
	v_cmp_eq_u32_e64 s1, 15, v3
	s_wait_alu 0xfffd
	v_cndmask_b32_e32 v7, v2, v7, vcc_lo
	v_cmp_gt_i32_e32 vcc_lo, 32, v8
	v_lshlrev_b32_e32 v13, 2, v6
	s_cselect_b32 s15, -1, 0
	s_delay_alu instid0(VALU_DEP_3) | instskip(SKIP_3) | instid1(VALU_DEP_2)
	v_lshlrev_b32_e32 v14, 2, v7
	s_wait_alu 0xfffd
	v_cndmask_b32_e32 v2, v2, v8, vcc_lo
	v_lshlrev_b32_e32 v12, 2, v5
	v_lshlrev_b32_e32 v15, 2, v2
	s_wait_kmcnt 0x0
	v_cmp_lt_i64_e64 s17, s[26:27], s[28:29]
	s_sub_nc_u64 s[4:5], s[26:27], s[2:3]
	s_sub_nc_u64 s[6:7], s[28:29], s[2:3]
	s_mul_i32 s28, s24, s16
	s_mul_u64 s[24:25], s[4:5], s[22:23]
	s_lshl_b32 s29, s16, 4
	s_branch .LBB49_11
.LBB49_10:                              ;   in Loop: Header=BB49_11 Depth=1
	s_wait_alu 0xfffe
	s_or_b32 exec_lo, exec_lo, s26
	v_add_nc_u32_e32 v1, 16, v1
	v_add_nc_u32_e32 v0, s29, v0
	s_delay_alu instid0(VALU_DEP_2) | instskip(SKIP_1) | instid1(SALU_CYCLE_1)
	v_cmp_le_i32_e32 vcc_lo, s16, v1
	s_or_b32 s3, vcc_lo, s3
	s_and_not1_b32 exec_lo, exec_lo, s3
	s_cbranch_execz .LBB49_27
.LBB49_11:                              ; =>This Loop Header: Depth=1
                                        ;     Child Loop BB49_15 Depth 2
                                        ;       Child Loop BB49_18 Depth 3
	v_mov_b32_e32 v16, 0
	s_and_not1_b32 vcc_lo, exec_lo, s17
	s_wait_alu 0xfffe
	s_cbranch_vccnz .LBB49_22
; %bb.12:                               ;   in Loop: Header=BB49_11 Depth=1
	s_wait_dscnt 0x0
	v_ashrrev_i32_e32 v5, 31, v0
	v_add_co_u32 v17, vcc_lo, s24, v0
	v_ashrrev_i32_e32 v2, 31, v1
	v_mov_b32_e32 v16, 0
	s_wait_alu 0xfffd
	v_add_co_ci_u32_e64 v18, null, s25, v5, vcc_lo
	s_mov_b64 s[26:27], s[4:5]
	s_branch .LBB49_15
.LBB49_13:                              ;   in Loop: Header=BB49_15 Depth=2
	s_or_b32 exec_lo, exec_lo, s31
.LBB49_14:                              ;   in Loop: Header=BB49_15 Depth=2
	s_delay_alu instid0(SALU_CYCLE_1)
	s_or_b32 exec_lo, exec_lo, s30
	s_wait_alu 0xfffe
	s_add_nc_u64 s[26:27], s[26:27], 1
	v_add_co_u32 v17, vcc_lo, v17, s22
	s_wait_alu 0xfffe
	v_cmp_ge_i64_e64 s30, s[26:27], s[6:7]
	s_wait_alu 0xfffd
	v_add_co_ci_u32_e64 v18, null, s23, v18, vcc_lo
	s_and_b32 vcc_lo, exec_lo, s30
	s_wait_alu 0xfffe
	s_cbranch_vccnz .LBB49_22
.LBB49_15:                              ;   Parent Loop BB49_11 Depth=1
                                        ; =>  This Loop Header: Depth=2
                                        ;       Child Loop BB49_18 Depth 3
	s_and_saveexec_b32 s30, s0
	s_cbranch_execz .LBB49_14
; %bb.16:                               ;   in Loop: Header=BB49_15 Depth=2
	s_wait_alu 0xfffe
	s_lshl_b64 s[34:35], s[26:27], 2
	v_mad_co_u64_u32 v[5:6], null, s22, s26, v[1:2]
	s_wait_alu 0xfffe
	s_add_nc_u64 s[34:35], s[8:9], s[34:35]
	s_mul_i32 s33, s23, s26
	s_load_b32 s31, s[34:35], 0x0
	s_mul_i32 s34, s22, s27
	v_dual_mov_b32 v19, v11 :: v_dual_mov_b32 v8, v4
	v_mov_b32_e32 v7, v3
	s_wait_alu 0xfffe
	v_add3_u32 v6, s34, s33, v6
	s_wait_kmcnt 0x0
	s_sub_co_i32 s31, s31, s2
	s_delay_alu instid0(SALU_CYCLE_1)
	s_mul_i32 s33, s31, s16
	s_mov_b32 s31, 0
	s_branch .LBB49_18
.LBB49_17:                              ;   in Loop: Header=BB49_18 Depth=3
	v_add_nc_u32_e32 v20, s33, v7
	v_add_co_u32 v9, vcc_lo, s10, v9
	s_wait_alu 0xfffd
	v_add_co_ci_u32_e64 v10, null, s11, v10, vcc_lo
	s_delay_alu instid0(VALU_DEP_3) | instskip(SKIP_3) | instid1(VALU_DEP_3)
	v_ashrrev_i32_e32 v21, 31, v20
	v_add_co_u32 v20, vcc_lo, s20, v20
	v_add_nc_u32_e32 v19, s29, v19
	s_wait_alu 0xfffd
	v_add_co_ci_u32_e64 v21, null, s21, v21, vcc_lo
	global_load_i8 v9, v[9:10], off
	global_load_i8 v10, v[20:21], off
	v_add_co_u32 v7, vcc_lo, v7, 16
	s_wait_alu 0xfffd
	v_add_co_ci_u32_e64 v8, null, 0, v8, vcc_lo
	s_delay_alu instid0(VALU_DEP_2)
	v_cmp_le_i32_e32 vcc_lo, s16, v7
	s_or_b32 s31, vcc_lo, s31
	s_wait_loadcnt 0x1
	v_cvt_f32_i32_e32 v9, v9
	s_wait_loadcnt 0x0
	v_cvt_f32_i32_e32 v10, v10
	s_delay_alu instid0(VALU_DEP_1)
	v_fmac_f32_e32 v16, v9, v10
	s_and_not1_b32 exec_lo, exec_lo, s31
	s_cbranch_execz .LBB49_13
.LBB49_18:                              ;   Parent Loop BB49_11 Depth=1
                                        ;     Parent Loop BB49_15 Depth=2
                                        ; =>    This Inner Loop Header: Depth=3
	s_and_b32 vcc_lo, exec_lo, s13
	s_wait_alu 0xfffe
	s_cbranch_vccz .LBB49_20
; %bb.19:                               ;   in Loop: Header=BB49_18 Depth=3
	v_ashrrev_i32_e32 v10, 31, v19
	v_add_co_u32 v9, vcc_lo, v5, v19
	s_wait_alu 0xfffd
	s_delay_alu instid0(VALU_DEP_2)
	v_add_co_ci_u32_e64 v10, null, v6, v10, vcc_lo
	s_cbranch_execnz .LBB49_17
	s_branch .LBB49_21
.LBB49_20:                              ;   in Loop: Header=BB49_18 Depth=3
                                        ; implicit-def: $vgpr9_vgpr10
.LBB49_21:                              ;   in Loop: Header=BB49_18 Depth=3
	v_add_co_u32 v9, vcc_lo, v17, v7
	s_wait_alu 0xfffd
	v_add_co_ci_u32_e64 v10, null, v18, v8, vcc_lo
	s_branch .LBB49_17
.LBB49_22:                              ;   in Loop: Header=BB49_11 Depth=1
	ds_bpermute_b32 v2, v12, v16
	s_wait_dscnt 0x0
	v_add_f32_e32 v2, v16, v2
	ds_bpermute_b32 v5, v13, v2
	s_wait_dscnt 0x0
	v_add_f32_e32 v2, v2, v5
	;; [unrolled: 3-line block ×3, first 2 shown]
	ds_bpermute_b32 v5, v15, v2
	s_and_saveexec_b32 s26, s1
	s_cbranch_execz .LBB49_10
; %bb.23:                               ;   in Loop: Header=BB49_11 Depth=1
	s_wait_dscnt 0x0
	v_add_f32_e32 v2, v2, v5
	v_add_nc_u32_e32 v5, s28, v1
	s_and_b32 vcc_lo, exec_lo, s15
	s_delay_alu instid0(VALU_DEP_2) | instskip(NEXT) | instid1(VALU_DEP_2)
	v_mul_f32_e32 v2, s12, v2
	v_ashrrev_i32_e32 v6, 31, v5
	s_wait_alu 0xfffe
	s_cbranch_vccz .LBB49_25
; %bb.24:                               ;   in Loop: Header=BB49_11 Depth=1
	s_delay_alu instid0(VALU_DEP_1) | instskip(NEXT) | instid1(VALU_DEP_1)
	v_lshlrev_b64_e32 v[7:8], 2, v[5:6]
	v_add_co_u32 v7, vcc_lo, s18, v7
	s_wait_alu 0xfffd
	s_delay_alu instid0(VALU_DEP_2)
	v_add_co_ci_u32_e64 v8, null, s19, v8, vcc_lo
	global_store_b32 v[7:8], v2, off
	s_cbranch_execnz .LBB49_10
	s_branch .LBB49_26
.LBB49_25:                              ;   in Loop: Header=BB49_11 Depth=1
.LBB49_26:                              ;   in Loop: Header=BB49_11 Depth=1
	s_delay_alu instid0(VALU_DEP_1) | instskip(NEXT) | instid1(VALU_DEP_1)
	v_lshlrev_b64_e32 v[5:6], 2, v[5:6]
	v_add_co_u32 v5, vcc_lo, s18, v5
	s_wait_alu 0xfffd
	s_delay_alu instid0(VALU_DEP_2)
	v_add_co_ci_u32_e64 v6, null, s19, v6, vcc_lo
	global_load_b32 v7, v[5:6], off
	s_wait_loadcnt 0x0
	v_fmac_f32_e32 v2, s14, v7
	global_store_b32 v[5:6], v2, off
	s_branch .LBB49_10
.LBB49_27:
	s_endpgm
	.section	.rodata,"a",@progbits
	.p2align	6, 0x0
	.amdhsa_kernel _ZN9rocsparseL22bsrxmvn_general_kernelILj256ELj16EfliaafEEv20rocsparse_direction_NS_24const_host_device_scalarIT1_EET3_PKS5_PKT2_SA_S7_PKT4_S5_PKT5_S4_PT6_21rocsparse_index_base_b
		.amdhsa_group_segment_fixed_size 0
		.amdhsa_private_segment_fixed_size 0
		.amdhsa_kernarg_size 104
		.amdhsa_user_sgpr_count 2
		.amdhsa_user_sgpr_dispatch_ptr 0
		.amdhsa_user_sgpr_queue_ptr 0
		.amdhsa_user_sgpr_kernarg_segment_ptr 1
		.amdhsa_user_sgpr_dispatch_id 0
		.amdhsa_user_sgpr_private_segment_size 0
		.amdhsa_wavefront_size32 1
		.amdhsa_uses_dynamic_stack 0
		.amdhsa_enable_private_segment 0
		.amdhsa_system_sgpr_workgroup_id_x 1
		.amdhsa_system_sgpr_workgroup_id_y 0
		.amdhsa_system_sgpr_workgroup_id_z 0
		.amdhsa_system_sgpr_workgroup_info 0
		.amdhsa_system_vgpr_workitem_id 0
		.amdhsa_next_free_vgpr 22
		.amdhsa_next_free_sgpr 36
		.amdhsa_reserve_vcc 1
		.amdhsa_float_round_mode_32 0
		.amdhsa_float_round_mode_16_64 0
		.amdhsa_float_denorm_mode_32 3
		.amdhsa_float_denorm_mode_16_64 3
		.amdhsa_fp16_overflow 0
		.amdhsa_workgroup_processor_mode 1
		.amdhsa_memory_ordered 1
		.amdhsa_forward_progress 1
		.amdhsa_inst_pref_size 10
		.amdhsa_round_robin_scheduling 0
		.amdhsa_exception_fp_ieee_invalid_op 0
		.amdhsa_exception_fp_denorm_src 0
		.amdhsa_exception_fp_ieee_div_zero 0
		.amdhsa_exception_fp_ieee_overflow 0
		.amdhsa_exception_fp_ieee_underflow 0
		.amdhsa_exception_fp_ieee_inexact 0
		.amdhsa_exception_int_div_zero 0
	.end_amdhsa_kernel
	.section	.text._ZN9rocsparseL22bsrxmvn_general_kernelILj256ELj16EfliaafEEv20rocsparse_direction_NS_24const_host_device_scalarIT1_EET3_PKS5_PKT2_SA_S7_PKT4_S5_PKT5_S4_PT6_21rocsparse_index_base_b,"axG",@progbits,_ZN9rocsparseL22bsrxmvn_general_kernelILj256ELj16EfliaafEEv20rocsparse_direction_NS_24const_host_device_scalarIT1_EET3_PKS5_PKT2_SA_S7_PKT4_S5_PKT5_S4_PT6_21rocsparse_index_base_b,comdat
.Lfunc_end49:
	.size	_ZN9rocsparseL22bsrxmvn_general_kernelILj256ELj16EfliaafEEv20rocsparse_direction_NS_24const_host_device_scalarIT1_EET3_PKS5_PKT2_SA_S7_PKT4_S5_PKT5_S4_PT6_21rocsparse_index_base_b, .Lfunc_end49-_ZN9rocsparseL22bsrxmvn_general_kernelILj256ELj16EfliaafEEv20rocsparse_direction_NS_24const_host_device_scalarIT1_EET3_PKS5_PKT2_SA_S7_PKT4_S5_PKT5_S4_PT6_21rocsparse_index_base_b
                                        ; -- End function
	.set _ZN9rocsparseL22bsrxmvn_general_kernelILj256ELj16EfliaafEEv20rocsparse_direction_NS_24const_host_device_scalarIT1_EET3_PKS5_PKT2_SA_S7_PKT4_S5_PKT5_S4_PT6_21rocsparse_index_base_b.num_vgpr, 22
	.set _ZN9rocsparseL22bsrxmvn_general_kernelILj256ELj16EfliaafEEv20rocsparse_direction_NS_24const_host_device_scalarIT1_EET3_PKS5_PKT2_SA_S7_PKT4_S5_PKT5_S4_PT6_21rocsparse_index_base_b.num_agpr, 0
	.set _ZN9rocsparseL22bsrxmvn_general_kernelILj256ELj16EfliaafEEv20rocsparse_direction_NS_24const_host_device_scalarIT1_EET3_PKS5_PKT2_SA_S7_PKT4_S5_PKT5_S4_PT6_21rocsparse_index_base_b.numbered_sgpr, 36
	.set _ZN9rocsparseL22bsrxmvn_general_kernelILj256ELj16EfliaafEEv20rocsparse_direction_NS_24const_host_device_scalarIT1_EET3_PKS5_PKT2_SA_S7_PKT4_S5_PKT5_S4_PT6_21rocsparse_index_base_b.num_named_barrier, 0
	.set _ZN9rocsparseL22bsrxmvn_general_kernelILj256ELj16EfliaafEEv20rocsparse_direction_NS_24const_host_device_scalarIT1_EET3_PKS5_PKT2_SA_S7_PKT4_S5_PKT5_S4_PT6_21rocsparse_index_base_b.private_seg_size, 0
	.set _ZN9rocsparseL22bsrxmvn_general_kernelILj256ELj16EfliaafEEv20rocsparse_direction_NS_24const_host_device_scalarIT1_EET3_PKS5_PKT2_SA_S7_PKT4_S5_PKT5_S4_PT6_21rocsparse_index_base_b.uses_vcc, 1
	.set _ZN9rocsparseL22bsrxmvn_general_kernelILj256ELj16EfliaafEEv20rocsparse_direction_NS_24const_host_device_scalarIT1_EET3_PKS5_PKT2_SA_S7_PKT4_S5_PKT5_S4_PT6_21rocsparse_index_base_b.uses_flat_scratch, 0
	.set _ZN9rocsparseL22bsrxmvn_general_kernelILj256ELj16EfliaafEEv20rocsparse_direction_NS_24const_host_device_scalarIT1_EET3_PKS5_PKT2_SA_S7_PKT4_S5_PKT5_S4_PT6_21rocsparse_index_base_b.has_dyn_sized_stack, 0
	.set _ZN9rocsparseL22bsrxmvn_general_kernelILj256ELj16EfliaafEEv20rocsparse_direction_NS_24const_host_device_scalarIT1_EET3_PKS5_PKT2_SA_S7_PKT4_S5_PKT5_S4_PT6_21rocsparse_index_base_b.has_recursion, 0
	.set _ZN9rocsparseL22bsrxmvn_general_kernelILj256ELj16EfliaafEEv20rocsparse_direction_NS_24const_host_device_scalarIT1_EET3_PKS5_PKT2_SA_S7_PKT4_S5_PKT5_S4_PT6_21rocsparse_index_base_b.has_indirect_call, 0
	.section	.AMDGPU.csdata,"",@progbits
; Kernel info:
; codeLenInByte = 1192
; TotalNumSgprs: 38
; NumVgprs: 22
; ScratchSize: 0
; MemoryBound: 0
; FloatMode: 240
; IeeeMode: 1
; LDSByteSize: 0 bytes/workgroup (compile time only)
; SGPRBlocks: 0
; VGPRBlocks: 2
; NumSGPRsForWavesPerEU: 38
; NumVGPRsForWavesPerEU: 22
; Occupancy: 16
; WaveLimiterHint : 1
; COMPUTE_PGM_RSRC2:SCRATCH_EN: 0
; COMPUTE_PGM_RSRC2:USER_SGPR: 2
; COMPUTE_PGM_RSRC2:TRAP_HANDLER: 0
; COMPUTE_PGM_RSRC2:TGID_X_EN: 1
; COMPUTE_PGM_RSRC2:TGID_Y_EN: 0
; COMPUTE_PGM_RSRC2:TGID_Z_EN: 0
; COMPUTE_PGM_RSRC2:TIDIG_COMP_CNT: 0
	.section	.text._ZN9rocsparseL22bsrxmvn_general_kernelILj1024ELj32EfliaafEEv20rocsparse_direction_NS_24const_host_device_scalarIT1_EET3_PKS5_PKT2_SA_S7_PKT4_S5_PKT5_S4_PT6_21rocsparse_index_base_b,"axG",@progbits,_ZN9rocsparseL22bsrxmvn_general_kernelILj1024ELj32EfliaafEEv20rocsparse_direction_NS_24const_host_device_scalarIT1_EET3_PKS5_PKT2_SA_S7_PKT4_S5_PKT5_S4_PT6_21rocsparse_index_base_b,comdat
	.globl	_ZN9rocsparseL22bsrxmvn_general_kernelILj1024ELj32EfliaafEEv20rocsparse_direction_NS_24const_host_device_scalarIT1_EET3_PKS5_PKT2_SA_S7_PKT4_S5_PKT5_S4_PT6_21rocsparse_index_base_b ; -- Begin function _ZN9rocsparseL22bsrxmvn_general_kernelILj1024ELj32EfliaafEEv20rocsparse_direction_NS_24const_host_device_scalarIT1_EET3_PKS5_PKT2_SA_S7_PKT4_S5_PKT5_S4_PT6_21rocsparse_index_base_b
	.p2align	8
	.type	_ZN9rocsparseL22bsrxmvn_general_kernelILj1024ELj32EfliaafEEv20rocsparse_direction_NS_24const_host_device_scalarIT1_EET3_PKS5_PKT2_SA_S7_PKT4_S5_PKT5_S4_PT6_21rocsparse_index_base_b,@function
_ZN9rocsparseL22bsrxmvn_general_kernelILj1024ELj32EfliaafEEv20rocsparse_direction_NS_24const_host_device_scalarIT1_EET3_PKS5_PKT2_SA_S7_PKT4_S5_PKT5_S4_PT6_21rocsparse_index_base_b: ; @_ZN9rocsparseL22bsrxmvn_general_kernelILj1024ELj32EfliaafEEv20rocsparse_direction_NS_24const_host_device_scalarIT1_EET3_PKS5_PKT2_SA_S7_PKT4_S5_PKT5_S4_PT6_21rocsparse_index_base_b
; %bb.0:
	s_clause 0x2
	s_load_b64 s[2:3], s[0:1], 0x60
	s_load_b64 s[12:13], s[0:1], 0x8
	;; [unrolled: 1-line block ×3, first 2 shown]
	s_wait_kmcnt 0x0
	s_bitcmp1_b32 s3, 0
	s_cselect_b32 s3, -1, 0
	s_delay_alu instid0(SALU_CYCLE_1)
	s_and_b32 vcc_lo, exec_lo, s3
	s_xor_b32 s3, s3, -1
	s_cbranch_vccnz .LBB50_2
; %bb.1:
	s_load_b32 s12, s[12:13], 0x0
.LBB50_2:
	s_and_not1_b32 vcc_lo, exec_lo, s3
	s_cbranch_vccnz .LBB50_4
; %bb.3:
	s_load_b32 s14, s[14:15], 0x0
.LBB50_4:
	s_wait_kmcnt 0x0
	s_cmp_neq_f32 s12, 0
	s_cselect_b32 s3, -1, 0
	s_cmp_neq_f32 s14, 1.0
	s_cselect_b32 s4, -1, 0
	s_delay_alu instid0(SALU_CYCLE_1) | instskip(NEXT) | instid1(SALU_CYCLE_1)
	s_or_b32 s3, s3, s4
	s_and_not1_b32 vcc_lo, exec_lo, s3
	s_cbranch_vccnz .LBB50_27
; %bb.5:
	s_load_b64 s[4:5], s[0:1], 0x18
	s_wait_kmcnt 0x0
	s_cmp_eq_u64 s[4:5], 0
	s_cbranch_scc1 .LBB50_7
; %bb.6:
	s_mov_b32 s6, ttmp9
	s_ashr_i32 s7, ttmp9, 31
	s_delay_alu instid0(SALU_CYCLE_1) | instskip(NEXT) | instid1(SALU_CYCLE_1)
	s_lshl_b64 s[6:7], s[6:7], 2
	s_add_nc_u64 s[4:5], s[4:5], s[6:7]
	s_load_b32 s3, s[4:5], 0x0
	s_wait_kmcnt 0x0
	s_sub_co_i32 s24, s3, s2
	s_branch .LBB50_8
.LBB50_7:
	s_mov_b32 s24, ttmp9
.LBB50_8:
	s_load_b32 s16, s[0:1], 0x40
	v_lshrrev_b32_e32 v1, 5, v0
	s_mov_b32 s3, exec_lo
	s_wait_kmcnt 0x0
	s_delay_alu instid0(VALU_DEP_1)
	v_cmpx_gt_i32_e64 s16, v1
	s_cbranch_execz .LBB50_27
; %bb.9:
	s_clause 0x2
	s_load_b256 s[4:11], s[0:1], 0x20
	s_load_b64 s[18:19], s[0:1], 0x58
	s_load_b64 s[20:21], s[0:1], 0x48
	v_dual_mov_b32 v2, 0 :: v_dual_and_b32 v3, 31, v0
	v_mbcnt_lo_u32_b32 v0, -1, 0
	s_ashr_i32 s25, s24, 31
	s_load_b32 s13, s[0:1], 0x0
	s_lshl_b64 s[26:27], s[24:25], 3
	s_mov_b32 s3, 0
	v_xor_b32_e32 v4, 16, v0
	v_xor_b32_e32 v5, 8, v0
	;; [unrolled: 1-line block ×5, first 2 shown]
	v_cmp_gt_i32_e32 vcc_lo, 32, v4
	s_mov_b32 s17, s3
	v_mul_lo_u32 v15, s16, v1
	v_mul_lo_u32 v16, s16, v3
	s_wait_alu 0xfffe
	s_mul_u64 s[22:23], s[16:17], s[16:17]
	s_wait_kmcnt 0x0
	s_add_nc_u64 s[4:5], s[4:5], s[26:27]
	v_cndmask_b32_e32 v4, v0, v4, vcc_lo
	v_cmp_gt_i32_e32 vcc_lo, 32, v5
	s_add_nc_u64 s[26:27], s[6:7], s[26:27]
	s_cmp_eq_u64 s[6:7], 0
	s_add_nc_u64 s[6:7], s[4:5], 8
	v_cmp_gt_u32_e64 s0, s16, v3
	s_cselect_b32 s7, s7, s27
	s_cselect_b32 s6, s6, s26
	s_load_b64 s[26:27], s[4:5], 0x0
	s_load_b64 s[28:29], s[6:7], 0x0
	v_cndmask_b32_e32 v5, v0, v5, vcc_lo
	v_cmp_gt_i32_e32 vcc_lo, 32, v6
	s_cmp_lg_u32 s13, 0
	v_cmp_eq_u32_e64 s1, 31, v3
	s_cselect_b32 s13, -1, 0
	s_cmp_eq_f32 s14, 0
	s_wait_alu 0xfffd
	v_cndmask_b32_e32 v6, v0, v6, vcc_lo
	v_cmp_gt_i32_e32 vcc_lo, 32, v7
	v_lshlrev_b32_e32 v11, 2, v5
	s_cselect_b32 s15, -1, 0
	s_wait_alu 0xfffd
	v_cndmask_b32_e32 v7, v0, v7, vcc_lo
	v_cmp_gt_i32_e32 vcc_lo, 32, v8
	s_wait_alu 0xfffd
	s_delay_alu instid0(VALU_DEP_2)
	v_dual_cndmask_b32 v8, v0, v8 :: v_dual_lshlrev_b32 v13, 2, v7
	s_wait_kmcnt 0x0
	v_cmp_lt_i64_e64 s17, s[26:27], s[28:29]
	v_lshlrev_b32_e32 v0, 2, v4
	v_lshlrev_b32_e32 v12, 2, v6
	v_mov_b32_e32 v4, v2
	v_lshlrev_b32_e32 v14, 2, v8
	s_sub_nc_u64 s[4:5], s[26:27], s[2:3]
	s_sub_nc_u64 s[6:7], s[28:29], s[2:3]
	s_mul_i32 s28, s24, s16
	s_mul_u64 s[24:25], s[4:5], s[22:23]
	s_lshl_b32 s29, s16, 5
	s_branch .LBB50_11
.LBB50_10:                              ;   in Loop: Header=BB50_11 Depth=1
	s_wait_alu 0xfffe
	s_or_b32 exec_lo, exec_lo, s26
	v_add_nc_u32_e32 v1, 32, v1
	v_add_nc_u32_e32 v15, s29, v15
	s_delay_alu instid0(VALU_DEP_2) | instskip(SKIP_1) | instid1(SALU_CYCLE_1)
	v_cmp_le_i32_e32 vcc_lo, s16, v1
	s_or_b32 s3, vcc_lo, s3
	s_and_not1_b32 exec_lo, exec_lo, s3
	s_cbranch_execz .LBB50_27
.LBB50_11:                              ; =>This Loop Header: Depth=1
                                        ;     Child Loop BB50_15 Depth 2
                                        ;       Child Loop BB50_18 Depth 3
	v_mov_b32_e32 v17, 0
	s_and_not1_b32 vcc_lo, exec_lo, s17
	s_wait_alu 0xfffe
	s_cbranch_vccnz .LBB50_22
; %bb.12:                               ;   in Loop: Header=BB50_11 Depth=1
	v_ashrrev_i32_e32 v5, 31, v15
	v_add_co_u32 v18, vcc_lo, s24, v15
	v_mov_b32_e32 v17, 0
	s_mov_b64 s[26:27], s[4:5]
	s_wait_alu 0xfffd
	v_add_co_ci_u32_e64 v19, null, s25, v5, vcc_lo
	s_branch .LBB50_15
.LBB50_13:                              ;   in Loop: Header=BB50_15 Depth=2
	s_or_b32 exec_lo, exec_lo, s31
.LBB50_14:                              ;   in Loop: Header=BB50_15 Depth=2
	s_delay_alu instid0(SALU_CYCLE_1)
	s_or_b32 exec_lo, exec_lo, s30
	s_wait_alu 0xfffe
	s_add_nc_u64 s[26:27], s[26:27], 1
	v_add_co_u32 v18, vcc_lo, v18, s22
	s_wait_alu 0xfffe
	v_cmp_ge_i64_e64 s30, s[26:27], s[6:7]
	s_wait_alu 0xfffd
	v_add_co_ci_u32_e64 v19, null, s23, v19, vcc_lo
	s_and_b32 vcc_lo, exec_lo, s30
	s_wait_alu 0xfffe
	s_cbranch_vccnz .LBB50_22
.LBB50_15:                              ;   Parent Loop BB50_11 Depth=1
                                        ; =>  This Loop Header: Depth=2
                                        ;       Child Loop BB50_18 Depth 3
	s_and_saveexec_b32 s30, s0
	s_cbranch_execz .LBB50_14
; %bb.16:                               ;   in Loop: Header=BB50_15 Depth=2
	s_wait_alu 0xfffe
	s_lshl_b64 s[34:35], s[26:27], 2
	s_wait_dscnt 0x0
	v_mad_co_u64_u32 v[5:6], null, s22, s26, v[1:2]
	s_wait_alu 0xfffe
	s_add_nc_u64 s[34:35], s[8:9], s[34:35]
	s_mul_i32 s33, s23, s26
	s_load_b32 s31, s[34:35], 0x0
	s_mul_i32 s34, s22, s27
	v_mov_b32_e32 v8, v4
	v_dual_mov_b32 v20, v16 :: v_dual_mov_b32 v7, v3
	s_wait_alu 0xfffe
	v_add3_u32 v6, s34, s33, v6
	s_wait_kmcnt 0x0
	s_sub_co_i32 s31, s31, s2
	s_delay_alu instid0(SALU_CYCLE_1)
	s_mul_i32 s33, s31, s16
	s_mov_b32 s31, 0
	s_branch .LBB50_18
.LBB50_17:                              ;   in Loop: Header=BB50_18 Depth=3
	v_add_nc_u32_e32 v21, s33, v7
	v_add_co_u32 v9, vcc_lo, s10, v9
	s_wait_alu 0xfffd
	v_add_co_ci_u32_e64 v10, null, s11, v10, vcc_lo
	s_delay_alu instid0(VALU_DEP_3) | instskip(SKIP_3) | instid1(VALU_DEP_3)
	v_ashrrev_i32_e32 v22, 31, v21
	v_add_co_u32 v21, vcc_lo, s20, v21
	v_add_nc_u32_e32 v20, s29, v20
	s_wait_alu 0xfffd
	v_add_co_ci_u32_e64 v22, null, s21, v22, vcc_lo
	global_load_i8 v9, v[9:10], off
	global_load_i8 v10, v[21:22], off
	v_add_co_u32 v7, vcc_lo, v7, 32
	s_wait_alu 0xfffd
	v_add_co_ci_u32_e64 v8, null, 0, v8, vcc_lo
	s_delay_alu instid0(VALU_DEP_2)
	v_cmp_le_i32_e32 vcc_lo, s16, v7
	s_or_b32 s31, vcc_lo, s31
	s_wait_loadcnt 0x1
	v_cvt_f32_i32_e32 v9, v9
	s_wait_loadcnt 0x0
	v_cvt_f32_i32_e32 v10, v10
	s_delay_alu instid0(VALU_DEP_1)
	v_fmac_f32_e32 v17, v9, v10
	s_and_not1_b32 exec_lo, exec_lo, s31
	s_cbranch_execz .LBB50_13
.LBB50_18:                              ;   Parent Loop BB50_11 Depth=1
                                        ;     Parent Loop BB50_15 Depth=2
                                        ; =>    This Inner Loop Header: Depth=3
	s_and_b32 vcc_lo, exec_lo, s13
	s_wait_alu 0xfffe
	s_cbranch_vccz .LBB50_20
; %bb.19:                               ;   in Loop: Header=BB50_18 Depth=3
	v_ashrrev_i32_e32 v10, 31, v20
	v_add_co_u32 v9, vcc_lo, v5, v20
	s_wait_alu 0xfffd
	s_delay_alu instid0(VALU_DEP_2)
	v_add_co_ci_u32_e64 v10, null, v6, v10, vcc_lo
	s_cbranch_execnz .LBB50_17
	s_branch .LBB50_21
.LBB50_20:                              ;   in Loop: Header=BB50_18 Depth=3
                                        ; implicit-def: $vgpr9_vgpr10
.LBB50_21:                              ;   in Loop: Header=BB50_18 Depth=3
	v_add_co_u32 v9, vcc_lo, v18, v7
	s_wait_alu 0xfffd
	v_add_co_ci_u32_e64 v10, null, v19, v8, vcc_lo
	s_branch .LBB50_17
.LBB50_22:                              ;   in Loop: Header=BB50_11 Depth=1
	ds_bpermute_b32 v5, v0, v17
	s_wait_dscnt 0x0
	v_add_f32_e32 v5, v17, v5
	ds_bpermute_b32 v6, v11, v5
	s_wait_dscnt 0x0
	v_add_f32_e32 v5, v5, v6
	ds_bpermute_b32 v6, v12, v5
	s_wait_dscnt 0x0
	v_add_f32_e32 v5, v5, v6
	ds_bpermute_b32 v6, v13, v5
	s_wait_dscnt 0x0
	v_add_f32_e32 v5, v5, v6
	ds_bpermute_b32 v6, v14, v5
	s_and_saveexec_b32 s26, s1
	s_cbranch_execz .LBB50_10
; %bb.23:                               ;   in Loop: Header=BB50_11 Depth=1
	s_wait_dscnt 0x0
	v_dual_add_f32 v6, v5, v6 :: v_dual_add_nc_u32 v5, s28, v1
	s_and_b32 vcc_lo, exec_lo, s15
	s_delay_alu instid0(VALU_DEP_1) | instskip(NEXT) | instid1(VALU_DEP_2)
	v_mul_f32_e32 v7, s12, v6
	v_ashrrev_i32_e32 v6, 31, v5
	s_wait_alu 0xfffe
	s_cbranch_vccz .LBB50_25
; %bb.24:                               ;   in Loop: Header=BB50_11 Depth=1
	s_delay_alu instid0(VALU_DEP_1) | instskip(NEXT) | instid1(VALU_DEP_1)
	v_lshlrev_b64_e32 v[8:9], 2, v[5:6]
	v_add_co_u32 v8, vcc_lo, s18, v8
	s_wait_alu 0xfffd
	s_delay_alu instid0(VALU_DEP_2)
	v_add_co_ci_u32_e64 v9, null, s19, v9, vcc_lo
	global_store_b32 v[8:9], v7, off
	s_cbranch_execnz .LBB50_10
	s_branch .LBB50_26
.LBB50_25:                              ;   in Loop: Header=BB50_11 Depth=1
.LBB50_26:                              ;   in Loop: Header=BB50_11 Depth=1
	s_delay_alu instid0(VALU_DEP_1) | instskip(NEXT) | instid1(VALU_DEP_1)
	v_lshlrev_b64_e32 v[5:6], 2, v[5:6]
	v_add_co_u32 v5, vcc_lo, s18, v5
	s_wait_alu 0xfffd
	s_delay_alu instid0(VALU_DEP_2)
	v_add_co_ci_u32_e64 v6, null, s19, v6, vcc_lo
	global_load_b32 v8, v[5:6], off
	s_wait_loadcnt 0x0
	v_fmac_f32_e32 v7, s14, v8
	global_store_b32 v[5:6], v7, off
	s_branch .LBB50_10
.LBB50_27:
	s_endpgm
	.section	.rodata,"a",@progbits
	.p2align	6, 0x0
	.amdhsa_kernel _ZN9rocsparseL22bsrxmvn_general_kernelILj1024ELj32EfliaafEEv20rocsparse_direction_NS_24const_host_device_scalarIT1_EET3_PKS5_PKT2_SA_S7_PKT4_S5_PKT5_S4_PT6_21rocsparse_index_base_b
		.amdhsa_group_segment_fixed_size 0
		.amdhsa_private_segment_fixed_size 0
		.amdhsa_kernarg_size 104
		.amdhsa_user_sgpr_count 2
		.amdhsa_user_sgpr_dispatch_ptr 0
		.amdhsa_user_sgpr_queue_ptr 0
		.amdhsa_user_sgpr_kernarg_segment_ptr 1
		.amdhsa_user_sgpr_dispatch_id 0
		.amdhsa_user_sgpr_private_segment_size 0
		.amdhsa_wavefront_size32 1
		.amdhsa_uses_dynamic_stack 0
		.amdhsa_enable_private_segment 0
		.amdhsa_system_sgpr_workgroup_id_x 1
		.amdhsa_system_sgpr_workgroup_id_y 0
		.amdhsa_system_sgpr_workgroup_id_z 0
		.amdhsa_system_sgpr_workgroup_info 0
		.amdhsa_system_vgpr_workitem_id 0
		.amdhsa_next_free_vgpr 23
		.amdhsa_next_free_sgpr 36
		.amdhsa_reserve_vcc 1
		.amdhsa_float_round_mode_32 0
		.amdhsa_float_round_mode_16_64 0
		.amdhsa_float_denorm_mode_32 3
		.amdhsa_float_denorm_mode_16_64 3
		.amdhsa_fp16_overflow 0
		.amdhsa_workgroup_processor_mode 1
		.amdhsa_memory_ordered 1
		.amdhsa_forward_progress 1
		.amdhsa_inst_pref_size 10
		.amdhsa_round_robin_scheduling 0
		.amdhsa_exception_fp_ieee_invalid_op 0
		.amdhsa_exception_fp_denorm_src 0
		.amdhsa_exception_fp_ieee_div_zero 0
		.amdhsa_exception_fp_ieee_overflow 0
		.amdhsa_exception_fp_ieee_underflow 0
		.amdhsa_exception_fp_ieee_inexact 0
		.amdhsa_exception_int_div_zero 0
	.end_amdhsa_kernel
	.section	.text._ZN9rocsparseL22bsrxmvn_general_kernelILj1024ELj32EfliaafEEv20rocsparse_direction_NS_24const_host_device_scalarIT1_EET3_PKS5_PKT2_SA_S7_PKT4_S5_PKT5_S4_PT6_21rocsparse_index_base_b,"axG",@progbits,_ZN9rocsparseL22bsrxmvn_general_kernelILj1024ELj32EfliaafEEv20rocsparse_direction_NS_24const_host_device_scalarIT1_EET3_PKS5_PKT2_SA_S7_PKT4_S5_PKT5_S4_PT6_21rocsparse_index_base_b,comdat
.Lfunc_end50:
	.size	_ZN9rocsparseL22bsrxmvn_general_kernelILj1024ELj32EfliaafEEv20rocsparse_direction_NS_24const_host_device_scalarIT1_EET3_PKS5_PKT2_SA_S7_PKT4_S5_PKT5_S4_PT6_21rocsparse_index_base_b, .Lfunc_end50-_ZN9rocsparseL22bsrxmvn_general_kernelILj1024ELj32EfliaafEEv20rocsparse_direction_NS_24const_host_device_scalarIT1_EET3_PKS5_PKT2_SA_S7_PKT4_S5_PKT5_S4_PT6_21rocsparse_index_base_b
                                        ; -- End function
	.set _ZN9rocsparseL22bsrxmvn_general_kernelILj1024ELj32EfliaafEEv20rocsparse_direction_NS_24const_host_device_scalarIT1_EET3_PKS5_PKT2_SA_S7_PKT4_S5_PKT5_S4_PT6_21rocsparse_index_base_b.num_vgpr, 23
	.set _ZN9rocsparseL22bsrxmvn_general_kernelILj1024ELj32EfliaafEEv20rocsparse_direction_NS_24const_host_device_scalarIT1_EET3_PKS5_PKT2_SA_S7_PKT4_S5_PKT5_S4_PT6_21rocsparse_index_base_b.num_agpr, 0
	.set _ZN9rocsparseL22bsrxmvn_general_kernelILj1024ELj32EfliaafEEv20rocsparse_direction_NS_24const_host_device_scalarIT1_EET3_PKS5_PKT2_SA_S7_PKT4_S5_PKT5_S4_PT6_21rocsparse_index_base_b.numbered_sgpr, 36
	.set _ZN9rocsparseL22bsrxmvn_general_kernelILj1024ELj32EfliaafEEv20rocsparse_direction_NS_24const_host_device_scalarIT1_EET3_PKS5_PKT2_SA_S7_PKT4_S5_PKT5_S4_PT6_21rocsparse_index_base_b.num_named_barrier, 0
	.set _ZN9rocsparseL22bsrxmvn_general_kernelILj1024ELj32EfliaafEEv20rocsparse_direction_NS_24const_host_device_scalarIT1_EET3_PKS5_PKT2_SA_S7_PKT4_S5_PKT5_S4_PT6_21rocsparse_index_base_b.private_seg_size, 0
	.set _ZN9rocsparseL22bsrxmvn_general_kernelILj1024ELj32EfliaafEEv20rocsparse_direction_NS_24const_host_device_scalarIT1_EET3_PKS5_PKT2_SA_S7_PKT4_S5_PKT5_S4_PT6_21rocsparse_index_base_b.uses_vcc, 1
	.set _ZN9rocsparseL22bsrxmvn_general_kernelILj1024ELj32EfliaafEEv20rocsparse_direction_NS_24const_host_device_scalarIT1_EET3_PKS5_PKT2_SA_S7_PKT4_S5_PKT5_S4_PT6_21rocsparse_index_base_b.uses_flat_scratch, 0
	.set _ZN9rocsparseL22bsrxmvn_general_kernelILj1024ELj32EfliaafEEv20rocsparse_direction_NS_24const_host_device_scalarIT1_EET3_PKS5_PKT2_SA_S7_PKT4_S5_PKT5_S4_PT6_21rocsparse_index_base_b.has_dyn_sized_stack, 0
	.set _ZN9rocsparseL22bsrxmvn_general_kernelILj1024ELj32EfliaafEEv20rocsparse_direction_NS_24const_host_device_scalarIT1_EET3_PKS5_PKT2_SA_S7_PKT4_S5_PKT5_S4_PT6_21rocsparse_index_base_b.has_recursion, 0
	.set _ZN9rocsparseL22bsrxmvn_general_kernelILj1024ELj32EfliaafEEv20rocsparse_direction_NS_24const_host_device_scalarIT1_EET3_PKS5_PKT2_SA_S7_PKT4_S5_PKT5_S4_PT6_21rocsparse_index_base_b.has_indirect_call, 0
	.section	.AMDGPU.csdata,"",@progbits
; Kernel info:
; codeLenInByte = 1228
; TotalNumSgprs: 38
; NumVgprs: 23
; ScratchSize: 0
; MemoryBound: 0
; FloatMode: 240
; IeeeMode: 1
; LDSByteSize: 0 bytes/workgroup (compile time only)
; SGPRBlocks: 0
; VGPRBlocks: 2
; NumSGPRsForWavesPerEU: 38
; NumVGPRsForWavesPerEU: 23
; Occupancy: 16
; WaveLimiterHint : 1
; COMPUTE_PGM_RSRC2:SCRATCH_EN: 0
; COMPUTE_PGM_RSRC2:USER_SGPR: 2
; COMPUTE_PGM_RSRC2:TRAP_HANDLER: 0
; COMPUTE_PGM_RSRC2:TGID_X_EN: 1
; COMPUTE_PGM_RSRC2:TGID_Y_EN: 0
; COMPUTE_PGM_RSRC2:TGID_Z_EN: 0
; COMPUTE_PGM_RSRC2:TIDIG_COMP_CNT: 0
	.section	.text._ZN9rocsparseL22bsrxmvn_general_kernelILj64ELj8EfllaafEEv20rocsparse_direction_NS_24const_host_device_scalarIT1_EET3_PKS5_PKT2_SA_S7_PKT4_S5_PKT5_S4_PT6_21rocsparse_index_base_b,"axG",@progbits,_ZN9rocsparseL22bsrxmvn_general_kernelILj64ELj8EfllaafEEv20rocsparse_direction_NS_24const_host_device_scalarIT1_EET3_PKS5_PKT2_SA_S7_PKT4_S5_PKT5_S4_PT6_21rocsparse_index_base_b,comdat
	.globl	_ZN9rocsparseL22bsrxmvn_general_kernelILj64ELj8EfllaafEEv20rocsparse_direction_NS_24const_host_device_scalarIT1_EET3_PKS5_PKT2_SA_S7_PKT4_S5_PKT5_S4_PT6_21rocsparse_index_base_b ; -- Begin function _ZN9rocsparseL22bsrxmvn_general_kernelILj64ELj8EfllaafEEv20rocsparse_direction_NS_24const_host_device_scalarIT1_EET3_PKS5_PKT2_SA_S7_PKT4_S5_PKT5_S4_PT6_21rocsparse_index_base_b
	.p2align	8
	.type	_ZN9rocsparseL22bsrxmvn_general_kernelILj64ELj8EfllaafEEv20rocsparse_direction_NS_24const_host_device_scalarIT1_EET3_PKS5_PKT2_SA_S7_PKT4_S5_PKT5_S4_PT6_21rocsparse_index_base_b,@function
_ZN9rocsparseL22bsrxmvn_general_kernelILj64ELj8EfllaafEEv20rocsparse_direction_NS_24const_host_device_scalarIT1_EET3_PKS5_PKT2_SA_S7_PKT4_S5_PKT5_S4_PT6_21rocsparse_index_base_b: ; @_ZN9rocsparseL22bsrxmvn_general_kernelILj64ELj8EfllaafEEv20rocsparse_direction_NS_24const_host_device_scalarIT1_EET3_PKS5_PKT2_SA_S7_PKT4_S5_PKT5_S4_PT6_21rocsparse_index_base_b
; %bb.0:
	s_clause 0x2
	s_load_b64 s[12:13], s[0:1], 0x60
	s_load_b64 s[14:15], s[0:1], 0x8
	;; [unrolled: 1-line block ×3, first 2 shown]
	s_wait_kmcnt 0x0
	s_bitcmp1_b32 s13, 0
	s_cselect_b32 s2, -1, 0
	s_delay_alu instid0(SALU_CYCLE_1)
	s_and_b32 vcc_lo, exec_lo, s2
	s_xor_b32 s2, s2, -1
	s_cbranch_vccnz .LBB51_2
; %bb.1:
	s_load_b32 s14, s[14:15], 0x0
.LBB51_2:
	s_and_not1_b32 vcc_lo, exec_lo, s2
	s_cbranch_vccnz .LBB51_4
; %bb.3:
	s_load_b32 s16, s[16:17], 0x0
.LBB51_4:
	s_wait_kmcnt 0x0
	s_cmp_neq_f32 s14, 0
	s_cselect_b32 s2, -1, 0
	s_cmp_neq_f32 s16, 1.0
	s_cselect_b32 s3, -1, 0
	s_delay_alu instid0(SALU_CYCLE_1)
	s_or_b32 s2, s2, s3
	s_mov_b32 s3, 0
	s_and_not1_b32 vcc_lo, exec_lo, s2
	s_cbranch_vccnz .LBB51_26
; %bb.5:
	s_load_b64 s[4:5], s[0:1], 0x18
	s_mov_b32 s2, ttmp9
	s_mov_b32 s13, s3
	s_wait_kmcnt 0x0
	s_cmp_eq_u64 s[4:5], 0
	s_cbranch_scc1 .LBB51_7
; %bb.6:
	s_lshl_b64 s[2:3], s[2:3], 3
	s_delay_alu instid0(SALU_CYCLE_1)
	s_add_nc_u64 s[2:3], s[4:5], s[2:3]
	s_load_b64 s[2:3], s[2:3], 0x0
	s_wait_kmcnt 0x0
	s_sub_nc_u64 s[2:3], s[2:3], s[12:13]
.LBB51_7:
	s_load_b64 s[18:19], s[0:1], 0x40
	v_lshrrev_b32_e32 v1, 3, v0
	v_mov_b32_e32 v2, 0
	s_mov_b32 s4, exec_lo
	s_wait_kmcnt 0x0
	s_delay_alu instid0(VALU_DEP_1)
	v_cmpx_gt_i64_e64 s[18:19], v[1:2]
	s_cbranch_execz .LBB51_26
; %bb.8:
	s_load_b256 s[4:11], s[0:1], 0x20
	s_lshl_b64 s[20:21], s[2:3], 3
	v_dual_mov_b32 v4, v2 :: v_dual_and_b32 v3, 7, v0
	v_mbcnt_lo_u32_b32 v0, -1, 0
	s_load_b32 s17, s[0:1], 0x0
	s_mul_u64 s[2:3], s[2:3], s[18:19]
	s_mov_b32 s15, 0
	s_delay_alu instid0(VALU_DEP_1) | instskip(SKIP_2) | instid1(VALU_DEP_3)
	v_xor_b32_e32 v5, 4, v0
	v_xor_b32_e32 v7, 2, v0
	;; [unrolled: 1-line block ×3, first 2 shown]
	v_cmp_gt_i32_e32 vcc_lo, 32, v5
	v_cndmask_b32_e32 v9, v0, v5, vcc_lo
	s_wait_kmcnt 0x0
	s_add_nc_u64 s[22:23], s[4:5], s[20:21]
	s_clause 0x1
	s_load_b64 s[24:25], s[0:1], 0x58
	s_load_b64 s[4:5], s[0:1], 0x48
	;; [unrolled: 1-line block ×3, first 2 shown]
	s_add_nc_u64 s[20:21], s[6:7], s[20:21]
	s_cmp_eq_u64 s[6:7], 0
	s_add_nc_u64 s[6:7], s[22:23], 8
	v_cmp_gt_i32_e32 vcc_lo, 32, v7
	s_cselect_b32 s7, s7, s21
	s_cselect_b32 s6, s6, s20
	s_cmp_lg_u32 s17, 0
	s_load_b64 s[22:23], s[6:7], 0x0
	v_cndmask_b32_e32 v7, v0, v7, vcc_lo
	v_cmp_gt_i32_e32 vcc_lo, 32, v8
	s_cselect_b32 s17, -1, 0
	s_cmp_eq_f32 s16, 0
	v_cmp_gt_u64_e64 s0, s[18:19], v[3:4]
	v_cmp_eq_u32_e64 s1, 7, v3
	s_wait_alu 0xfffd
	v_cndmask_b32_e32 v8, v0, v8, vcc_lo
	s_cselect_b32 s33, -1, 0
	s_lshl_b64 s[2:3], s[2:3], 2
	s_delay_alu instid0(VALU_DEP_1) | instskip(SKIP_2) | instid1(SALU_CYCLE_1)
	v_lshlrev_b32_e32 v14, 2, v8
	s_wait_kmcnt 0x0
	s_sub_nc_u64 s[6:7], s[26:27], s[12:13]
	v_mad_co_u64_u32 v[5:6], null, s18, s6, v[1:2]
	s_mul_i32 s20, s19, s6
	s_mul_i32 s21, s18, s7
	v_cmp_lt_i64_e64 s34, s[26:27], s[22:23]
	s_mul_u64 s[26:27], s[18:19], s[18:19]
	v_add3_u32 v0, s21, s20, v6
	v_mul_lo_u32 v10, s19, v5
	v_mad_co_u64_u32 v[5:6], null, s18, v5, 0
	s_sub_nc_u64 s[20:21], s[22:23], s[12:13]
	v_mul_lo_u32 v11, s18, v0
	v_lshlrev_b32_e32 v0, 2, v9
	v_lshlrev_b32_e32 v13, 2, v7
	s_add_nc_u64 s[22:23], s[24:25], s[2:3]
	s_lshl_b64 s[24:25], s[18:19], 3
	s_delay_alu instid0(VALU_DEP_3)
	v_add3_u32 v6, v6, v11, v10
	s_branch .LBB51_10
.LBB51_9:                               ;   in Loop: Header=BB51_10 Depth=1
	s_wait_alu 0xfffe
	s_or_b32 exec_lo, exec_lo, s2
	v_add_co_u32 v1, vcc_lo, v1, 8
	s_wait_alu 0xfffd
	v_add_co_ci_u32_e64 v2, null, 0, v2, vcc_lo
	v_add_co_u32 v5, s2, v5, s24
	s_wait_alu 0xf1ff
	v_add_co_ci_u32_e64 v6, null, s25, v6, s2
	s_delay_alu instid0(VALU_DEP_3)
	v_cmp_le_i64_e32 vcc_lo, s[18:19], v[1:2]
	s_or_b32 s15, vcc_lo, s15
	s_wait_alu 0xfffe
	s_and_not1_b32 exec_lo, exec_lo, s15
	s_cbranch_execz .LBB51_26
.LBB51_10:                              ; =>This Loop Header: Depth=1
                                        ;     Child Loop BB51_14 Depth 2
                                        ;       Child Loop BB51_17 Depth 3
	v_mov_b32_e32 v15, 0
	s_and_not1_b32 vcc_lo, exec_lo, s34
	s_wait_alu 0xfffe
	s_cbranch_vccnz .LBB51_21
; %bb.11:                               ;   in Loop: Header=BB51_10 Depth=1
	s_wait_dscnt 0x0
	v_dual_mov_b32 v15, 0 :: v_dual_mov_b32 v8, v6
	v_mov_b32_e32 v7, v5
	s_mov_b64 s[2:3], s[6:7]
	s_branch .LBB51_14
.LBB51_12:                              ;   in Loop: Header=BB51_14 Depth=2
	s_or_b32 exec_lo, exec_lo, s36
.LBB51_13:                              ;   in Loop: Header=BB51_14 Depth=2
	s_delay_alu instid0(SALU_CYCLE_1)
	s_or_b32 exec_lo, exec_lo, s35
	s_wait_alu 0xfffe
	s_add_nc_u64 s[2:3], s[2:3], 1
	v_add_co_u32 v7, vcc_lo, v7, s26
	s_wait_alu 0xfffe
	v_cmp_ge_i64_e64 s28, s[2:3], s[20:21]
	s_wait_alu 0xfffd
	v_add_co_ci_u32_e64 v8, null, s27, v8, vcc_lo
	s_and_b32 vcc_lo, exec_lo, s28
	s_wait_alu 0xfffe
	s_cbranch_vccnz .LBB51_21
.LBB51_14:                              ;   Parent Loop BB51_10 Depth=1
                                        ; =>  This Loop Header: Depth=2
                                        ;       Child Loop BB51_17 Depth 3
	s_and_saveexec_b32 s35, s0
	s_cbranch_execz .LBB51_13
; %bb.15:                               ;   in Loop: Header=BB51_14 Depth=2
	s_wait_alu 0xfffe
	s_lshl_b64 s[28:29], s[2:3], 3
	v_dual_mov_b32 v10, v4 :: v_dual_mov_b32 v9, v3
	s_wait_alu 0xfffe
	s_add_nc_u64 s[28:29], s[8:9], s[28:29]
	s_mov_b32 s36, 0
	s_load_b64 s[28:29], s[28:29], 0x0
	s_wait_kmcnt 0x0
	s_sub_nc_u64 s[28:29], s[28:29], s[12:13]
	s_wait_alu 0xfffe
	s_mul_u64 s[30:31], s[28:29], s[18:19]
	s_mul_u64 s[28:29], s[2:3], s[18:19]
	s_wait_alu 0xfffe
	s_add_nc_u64 s[30:31], s[4:5], s[30:31]
	s_branch .LBB51_17
.LBB51_16:                              ;   in Loop: Header=BB51_17 Depth=3
	s_delay_alu instid0(VALU_DEP_2) | instskip(SKIP_1) | instid1(VALU_DEP_2)
	v_add_co_u32 v11, vcc_lo, s10, v11
	s_wait_alu 0xfffd
	v_add_co_ci_u32_e64 v12, null, s11, v12, vcc_lo
	v_add_co_u32 v16, vcc_lo, s30, v9
	s_wait_alu 0xfffd
	v_add_co_ci_u32_e64 v17, null, s31, v10, vcc_lo
	global_load_i8 v11, v[11:12], off
	global_load_i8 v12, v[16:17], off
	v_add_co_u32 v9, vcc_lo, v9, 8
	s_wait_alu 0xfffd
	v_add_co_ci_u32_e64 v10, null, 0, v10, vcc_lo
	s_delay_alu instid0(VALU_DEP_1)
	v_cmp_le_i64_e32 vcc_lo, s[18:19], v[9:10]
	s_or_b32 s36, vcc_lo, s36
	s_wait_loadcnt 0x1
	v_cvt_f32_i32_e32 v11, v11
	s_wait_loadcnt 0x0
	v_cvt_f32_i32_e32 v12, v12
	s_delay_alu instid0(VALU_DEP_1)
	v_fmac_f32_e32 v15, v11, v12
	s_and_not1_b32 exec_lo, exec_lo, s36
	s_cbranch_execz .LBB51_12
.LBB51_17:                              ;   Parent Loop BB51_10 Depth=1
                                        ;     Parent Loop BB51_14 Depth=2
                                        ; =>    This Inner Loop Header: Depth=3
	s_and_b32 vcc_lo, exec_lo, s17
	s_wait_alu 0xfffe
	s_cbranch_vccz .LBB51_19
; %bb.18:                               ;   in Loop: Header=BB51_17 Depth=3
	v_add_co_u32 v11, vcc_lo, v9, s28
	s_wait_alu 0xfffd
	v_add_co_ci_u32_e64 v12, null, s29, v10, vcc_lo
	s_delay_alu instid0(VALU_DEP_2) | instskip(NEXT) | instid1(VALU_DEP_2)
	v_mul_lo_u32 v16, v11, s19
	v_mul_lo_u32 v17, v12, s18
	v_mad_co_u64_u32 v[11:12], null, v11, s18, v[1:2]
	s_delay_alu instid0(VALU_DEP_1)
	v_add3_u32 v12, v17, v12, v16
	s_cbranch_execnz .LBB51_16
	s_branch .LBB51_20
.LBB51_19:                              ;   in Loop: Header=BB51_17 Depth=3
                                        ; implicit-def: $vgpr11_vgpr12
.LBB51_20:                              ;   in Loop: Header=BB51_17 Depth=3
	v_add_co_u32 v11, vcc_lo, v7, v9
	s_wait_alu 0xfffd
	v_add_co_ci_u32_e64 v12, null, v8, v10, vcc_lo
	s_branch .LBB51_16
.LBB51_21:                              ;   in Loop: Header=BB51_10 Depth=1
	ds_bpermute_b32 v7, v0, v15
	s_wait_dscnt 0x0
	v_add_f32_e32 v7, v15, v7
	ds_bpermute_b32 v8, v13, v7
	s_wait_dscnt 0x0
	v_add_f32_e32 v7, v7, v8
	ds_bpermute_b32 v8, v14, v7
	s_and_saveexec_b32 s2, s1
	s_cbranch_execz .LBB51_9
; %bb.22:                               ;   in Loop: Header=BB51_10 Depth=1
	s_wait_dscnt 0x0
	v_add_f32_e32 v9, v7, v8
	v_lshlrev_b64_e32 v[7:8], 2, v[1:2]
	s_and_b32 vcc_lo, exec_lo, s33
	s_delay_alu instid0(VALU_DEP_2)
	v_mul_f32_e32 v9, s14, v9
	s_wait_alu 0xfffe
	s_cbranch_vccz .LBB51_24
; %bb.23:                               ;   in Loop: Header=BB51_10 Depth=1
	s_delay_alu instid0(VALU_DEP_2)
	v_add_co_u32 v10, vcc_lo, s22, v7
	s_wait_alu 0xfffd
	v_add_co_ci_u32_e64 v11, null, s23, v8, vcc_lo
	global_store_b32 v[10:11], v9, off
	s_cbranch_execnz .LBB51_9
	s_branch .LBB51_25
.LBB51_24:                              ;   in Loop: Header=BB51_10 Depth=1
.LBB51_25:                              ;   in Loop: Header=BB51_10 Depth=1
	s_delay_alu instid0(VALU_DEP_2)
	v_add_co_u32 v7, vcc_lo, s22, v7
	s_wait_alu 0xfffd
	v_add_co_ci_u32_e64 v8, null, s23, v8, vcc_lo
	global_load_b32 v10, v[7:8], off
	s_wait_loadcnt 0x0
	v_fmac_f32_e32 v9, s16, v10
	global_store_b32 v[7:8], v9, off
	s_branch .LBB51_9
.LBB51_26:
	s_endpgm
	.section	.rodata,"a",@progbits
	.p2align	6, 0x0
	.amdhsa_kernel _ZN9rocsparseL22bsrxmvn_general_kernelILj64ELj8EfllaafEEv20rocsparse_direction_NS_24const_host_device_scalarIT1_EET3_PKS5_PKT2_SA_S7_PKT4_S5_PKT5_S4_PT6_21rocsparse_index_base_b
		.amdhsa_group_segment_fixed_size 0
		.amdhsa_private_segment_fixed_size 0
		.amdhsa_kernarg_size 104
		.amdhsa_user_sgpr_count 2
		.amdhsa_user_sgpr_dispatch_ptr 0
		.amdhsa_user_sgpr_queue_ptr 0
		.amdhsa_user_sgpr_kernarg_segment_ptr 1
		.amdhsa_user_sgpr_dispatch_id 0
		.amdhsa_user_sgpr_private_segment_size 0
		.amdhsa_wavefront_size32 1
		.amdhsa_uses_dynamic_stack 0
		.amdhsa_enable_private_segment 0
		.amdhsa_system_sgpr_workgroup_id_x 1
		.amdhsa_system_sgpr_workgroup_id_y 0
		.amdhsa_system_sgpr_workgroup_id_z 0
		.amdhsa_system_sgpr_workgroup_info 0
		.amdhsa_system_vgpr_workitem_id 0
		.amdhsa_next_free_vgpr 18
		.amdhsa_next_free_sgpr 37
		.amdhsa_reserve_vcc 1
		.amdhsa_float_round_mode_32 0
		.amdhsa_float_round_mode_16_64 0
		.amdhsa_float_denorm_mode_32 3
		.amdhsa_float_denorm_mode_16_64 3
		.amdhsa_fp16_overflow 0
		.amdhsa_workgroup_processor_mode 1
		.amdhsa_memory_ordered 1
		.amdhsa_forward_progress 1
		.amdhsa_inst_pref_size 10
		.amdhsa_round_robin_scheduling 0
		.amdhsa_exception_fp_ieee_invalid_op 0
		.amdhsa_exception_fp_denorm_src 0
		.amdhsa_exception_fp_ieee_div_zero 0
		.amdhsa_exception_fp_ieee_overflow 0
		.amdhsa_exception_fp_ieee_underflow 0
		.amdhsa_exception_fp_ieee_inexact 0
		.amdhsa_exception_int_div_zero 0
	.end_amdhsa_kernel
	.section	.text._ZN9rocsparseL22bsrxmvn_general_kernelILj64ELj8EfllaafEEv20rocsparse_direction_NS_24const_host_device_scalarIT1_EET3_PKS5_PKT2_SA_S7_PKT4_S5_PKT5_S4_PT6_21rocsparse_index_base_b,"axG",@progbits,_ZN9rocsparseL22bsrxmvn_general_kernelILj64ELj8EfllaafEEv20rocsparse_direction_NS_24const_host_device_scalarIT1_EET3_PKS5_PKT2_SA_S7_PKT4_S5_PKT5_S4_PT6_21rocsparse_index_base_b,comdat
.Lfunc_end51:
	.size	_ZN9rocsparseL22bsrxmvn_general_kernelILj64ELj8EfllaafEEv20rocsparse_direction_NS_24const_host_device_scalarIT1_EET3_PKS5_PKT2_SA_S7_PKT4_S5_PKT5_S4_PT6_21rocsparse_index_base_b, .Lfunc_end51-_ZN9rocsparseL22bsrxmvn_general_kernelILj64ELj8EfllaafEEv20rocsparse_direction_NS_24const_host_device_scalarIT1_EET3_PKS5_PKT2_SA_S7_PKT4_S5_PKT5_S4_PT6_21rocsparse_index_base_b
                                        ; -- End function
	.set _ZN9rocsparseL22bsrxmvn_general_kernelILj64ELj8EfllaafEEv20rocsparse_direction_NS_24const_host_device_scalarIT1_EET3_PKS5_PKT2_SA_S7_PKT4_S5_PKT5_S4_PT6_21rocsparse_index_base_b.num_vgpr, 18
	.set _ZN9rocsparseL22bsrxmvn_general_kernelILj64ELj8EfllaafEEv20rocsparse_direction_NS_24const_host_device_scalarIT1_EET3_PKS5_PKT2_SA_S7_PKT4_S5_PKT5_S4_PT6_21rocsparse_index_base_b.num_agpr, 0
	.set _ZN9rocsparseL22bsrxmvn_general_kernelILj64ELj8EfllaafEEv20rocsparse_direction_NS_24const_host_device_scalarIT1_EET3_PKS5_PKT2_SA_S7_PKT4_S5_PKT5_S4_PT6_21rocsparse_index_base_b.numbered_sgpr, 37
	.set _ZN9rocsparseL22bsrxmvn_general_kernelILj64ELj8EfllaafEEv20rocsparse_direction_NS_24const_host_device_scalarIT1_EET3_PKS5_PKT2_SA_S7_PKT4_S5_PKT5_S4_PT6_21rocsparse_index_base_b.num_named_barrier, 0
	.set _ZN9rocsparseL22bsrxmvn_general_kernelILj64ELj8EfllaafEEv20rocsparse_direction_NS_24const_host_device_scalarIT1_EET3_PKS5_PKT2_SA_S7_PKT4_S5_PKT5_S4_PT6_21rocsparse_index_base_b.private_seg_size, 0
	.set _ZN9rocsparseL22bsrxmvn_general_kernelILj64ELj8EfllaafEEv20rocsparse_direction_NS_24const_host_device_scalarIT1_EET3_PKS5_PKT2_SA_S7_PKT4_S5_PKT5_S4_PT6_21rocsparse_index_base_b.uses_vcc, 1
	.set _ZN9rocsparseL22bsrxmvn_general_kernelILj64ELj8EfllaafEEv20rocsparse_direction_NS_24const_host_device_scalarIT1_EET3_PKS5_PKT2_SA_S7_PKT4_S5_PKT5_S4_PT6_21rocsparse_index_base_b.uses_flat_scratch, 0
	.set _ZN9rocsparseL22bsrxmvn_general_kernelILj64ELj8EfllaafEEv20rocsparse_direction_NS_24const_host_device_scalarIT1_EET3_PKS5_PKT2_SA_S7_PKT4_S5_PKT5_S4_PT6_21rocsparse_index_base_b.has_dyn_sized_stack, 0
	.set _ZN9rocsparseL22bsrxmvn_general_kernelILj64ELj8EfllaafEEv20rocsparse_direction_NS_24const_host_device_scalarIT1_EET3_PKS5_PKT2_SA_S7_PKT4_S5_PKT5_S4_PT6_21rocsparse_index_base_b.has_recursion, 0
	.set _ZN9rocsparseL22bsrxmvn_general_kernelILj64ELj8EfllaafEEv20rocsparse_direction_NS_24const_host_device_scalarIT1_EET3_PKS5_PKT2_SA_S7_PKT4_S5_PKT5_S4_PT6_21rocsparse_index_base_b.has_indirect_call, 0
	.section	.AMDGPU.csdata,"",@progbits
; Kernel info:
; codeLenInByte = 1192
; TotalNumSgprs: 39
; NumVgprs: 18
; ScratchSize: 0
; MemoryBound: 0
; FloatMode: 240
; IeeeMode: 1
; LDSByteSize: 0 bytes/workgroup (compile time only)
; SGPRBlocks: 0
; VGPRBlocks: 2
; NumSGPRsForWavesPerEU: 39
; NumVGPRsForWavesPerEU: 18
; Occupancy: 16
; WaveLimiterHint : 1
; COMPUTE_PGM_RSRC2:SCRATCH_EN: 0
; COMPUTE_PGM_RSRC2:USER_SGPR: 2
; COMPUTE_PGM_RSRC2:TRAP_HANDLER: 0
; COMPUTE_PGM_RSRC2:TGID_X_EN: 1
; COMPUTE_PGM_RSRC2:TGID_Y_EN: 0
; COMPUTE_PGM_RSRC2:TGID_Z_EN: 0
; COMPUTE_PGM_RSRC2:TIDIG_COMP_CNT: 0
	.section	.text._ZN9rocsparseL22bsrxmvn_general_kernelILj256ELj16EfllaafEEv20rocsparse_direction_NS_24const_host_device_scalarIT1_EET3_PKS5_PKT2_SA_S7_PKT4_S5_PKT5_S4_PT6_21rocsparse_index_base_b,"axG",@progbits,_ZN9rocsparseL22bsrxmvn_general_kernelILj256ELj16EfllaafEEv20rocsparse_direction_NS_24const_host_device_scalarIT1_EET3_PKS5_PKT2_SA_S7_PKT4_S5_PKT5_S4_PT6_21rocsparse_index_base_b,comdat
	.globl	_ZN9rocsparseL22bsrxmvn_general_kernelILj256ELj16EfllaafEEv20rocsparse_direction_NS_24const_host_device_scalarIT1_EET3_PKS5_PKT2_SA_S7_PKT4_S5_PKT5_S4_PT6_21rocsparse_index_base_b ; -- Begin function _ZN9rocsparseL22bsrxmvn_general_kernelILj256ELj16EfllaafEEv20rocsparse_direction_NS_24const_host_device_scalarIT1_EET3_PKS5_PKT2_SA_S7_PKT4_S5_PKT5_S4_PT6_21rocsparse_index_base_b
	.p2align	8
	.type	_ZN9rocsparseL22bsrxmvn_general_kernelILj256ELj16EfllaafEEv20rocsparse_direction_NS_24const_host_device_scalarIT1_EET3_PKS5_PKT2_SA_S7_PKT4_S5_PKT5_S4_PT6_21rocsparse_index_base_b,@function
_ZN9rocsparseL22bsrxmvn_general_kernelILj256ELj16EfllaafEEv20rocsparse_direction_NS_24const_host_device_scalarIT1_EET3_PKS5_PKT2_SA_S7_PKT4_S5_PKT5_S4_PT6_21rocsparse_index_base_b: ; @_ZN9rocsparseL22bsrxmvn_general_kernelILj256ELj16EfllaafEEv20rocsparse_direction_NS_24const_host_device_scalarIT1_EET3_PKS5_PKT2_SA_S7_PKT4_S5_PKT5_S4_PT6_21rocsparse_index_base_b
; %bb.0:
	s_clause 0x2
	s_load_b64 s[12:13], s[0:1], 0x60
	s_load_b64 s[14:15], s[0:1], 0x8
	s_load_b64 s[16:17], s[0:1], 0x50
	s_wait_kmcnt 0x0
	s_bitcmp1_b32 s13, 0
	s_cselect_b32 s2, -1, 0
	s_delay_alu instid0(SALU_CYCLE_1)
	s_and_b32 vcc_lo, exec_lo, s2
	s_xor_b32 s2, s2, -1
	s_cbranch_vccnz .LBB52_2
; %bb.1:
	s_load_b32 s14, s[14:15], 0x0
.LBB52_2:
	s_and_not1_b32 vcc_lo, exec_lo, s2
	s_cbranch_vccnz .LBB52_4
; %bb.3:
	s_load_b32 s16, s[16:17], 0x0
.LBB52_4:
	s_wait_kmcnt 0x0
	s_cmp_neq_f32 s14, 0
	s_cselect_b32 s2, -1, 0
	s_cmp_neq_f32 s16, 1.0
	s_cselect_b32 s3, -1, 0
	s_delay_alu instid0(SALU_CYCLE_1)
	s_or_b32 s2, s2, s3
	s_mov_b32 s3, 0
	s_and_not1_b32 vcc_lo, exec_lo, s2
	s_cbranch_vccnz .LBB52_26
; %bb.5:
	s_load_b64 s[4:5], s[0:1], 0x18
	s_mov_b32 s2, ttmp9
	s_mov_b32 s13, s3
	s_wait_kmcnt 0x0
	s_cmp_eq_u64 s[4:5], 0
	s_cbranch_scc1 .LBB52_7
; %bb.6:
	s_lshl_b64 s[2:3], s[2:3], 3
	s_delay_alu instid0(SALU_CYCLE_1)
	s_add_nc_u64 s[2:3], s[4:5], s[2:3]
	s_load_b64 s[2:3], s[2:3], 0x0
	s_wait_kmcnt 0x0
	s_sub_nc_u64 s[2:3], s[2:3], s[12:13]
.LBB52_7:
	s_load_b64 s[18:19], s[0:1], 0x40
	v_lshrrev_b32_e32 v1, 4, v0
	v_mov_b32_e32 v2, 0
	s_mov_b32 s4, exec_lo
	s_wait_kmcnt 0x0
	s_delay_alu instid0(VALU_DEP_1)
	v_cmpx_gt_i64_e64 s[18:19], v[1:2]
	s_cbranch_execz .LBB52_26
; %bb.8:
	s_clause 0x2
	s_load_b256 s[4:11], s[0:1], 0x20
	s_load_b64 s[22:23], s[0:1], 0x58
	s_load_b64 s[20:21], s[0:1], 0x48
	s_lshl_b64 s[24:25], s[2:3], 3
	v_dual_mov_b32 v4, v2 :: v_dual_and_b32 v3, 15, v0
	v_mbcnt_lo_u32_b32 v0, -1, 0
	s_mul_u64 s[2:3], s[2:3], s[18:19]
	s_mov_b32 s15, 0
	s_delay_alu instid0(VALU_DEP_1) | instskip(SKIP_3) | instid1(VALU_DEP_4)
	v_xor_b32_e32 v5, 8, v0
	v_xor_b32_e32 v6, 4, v0
	;; [unrolled: 1-line block ×4, first 2 shown]
	v_cmp_gt_i32_e32 vcc_lo, 32, v5
	s_wait_kmcnt 0x0
	s_add_nc_u64 s[4:5], s[4:5], s[24:25]
	v_cndmask_b32_e32 v9, v0, v5, vcc_lo
	s_load_b64 s[26:27], s[4:5], 0x0
	s_load_b32 s17, s[0:1], 0x0
	v_cmp_gt_i32_e32 vcc_lo, 32, v6
	s_add_nc_u64 s[24:25], s[6:7], s[24:25]
	s_cmp_eq_u64 s[6:7], 0
	s_add_nc_u64 s[4:5], s[4:5], 8
	v_cmp_gt_u64_e64 s0, s[18:19], v[3:4]
	s_cselect_b32 s5, s5, s25
	s_cselect_b32 s4, s4, s24
	s_wait_alu 0xfffd
	v_cndmask_b32_e32 v10, v0, v6, vcc_lo
	s_load_b64 s[24:25], s[4:5], 0x0
	v_cmp_gt_i32_e32 vcc_lo, 32, v7
	v_cmp_eq_u32_e64 s1, 15, v3
	s_wait_alu 0xfffd
	v_cndmask_b32_e32 v7, v0, v7, vcc_lo
	v_cmp_gt_i32_e32 vcc_lo, 32, v8
	s_wait_kmcnt 0x0
	s_sub_nc_u64 s[4:5], s[26:27], s[12:13]
	s_delay_alu instid0(VALU_DEP_2)
	v_lshlrev_b32_e32 v14, 2, v7
	v_mad_co_u64_u32 v[5:6], null, s18, s4, v[1:2]
	s_mul_i32 s6, s19, s4
	s_mul_i32 s7, s18, s5
	s_wait_alu 0xfffd
	v_cndmask_b32_e32 v8, v0, v8, vcc_lo
	v_lshlrev_b32_e32 v0, 2, v9
	s_cmp_lg_u32 s17, 0
	s_cselect_b32 s17, -1, 0
	v_add3_u32 v9, s7, s6, v6
	v_mul_lo_u32 v11, s19, v5
	v_mad_co_u64_u32 v[5:6], null, s18, v5, 0
	s_cmp_eq_f32 s16, 0
	v_mul_lo_u32 v9, s18, v9
	v_cmp_lt_i64_e64 s34, s[26:27], s[24:25]
	v_lshlrev_b32_e32 v15, 2, v8
	v_lshlrev_b32_e32 v13, 2, v10
	s_cselect_b32 s33, -1, 0
	s_lshl_b64 s[2:3], s[2:3], 2
	s_sub_nc_u64 s[6:7], s[24:25], s[12:13]
	s_add_nc_u64 s[22:23], s[22:23], s[2:3]
	v_add3_u32 v6, v6, v9, v11
	s_lshl_b64 s[24:25], s[18:19], 4
	s_mul_u64 s[26:27], s[18:19], s[18:19]
	s_branch .LBB52_10
.LBB52_9:                               ;   in Loop: Header=BB52_10 Depth=1
	s_wait_alu 0xfffe
	s_or_b32 exec_lo, exec_lo, s2
	v_add_co_u32 v1, vcc_lo, v1, 16
	s_wait_alu 0xfffd
	v_add_co_ci_u32_e64 v2, null, 0, v2, vcc_lo
	v_add_co_u32 v5, s2, v5, s24
	s_wait_alu 0xf1ff
	v_add_co_ci_u32_e64 v6, null, s25, v6, s2
	s_delay_alu instid0(VALU_DEP_3)
	v_cmp_le_i64_e32 vcc_lo, s[18:19], v[1:2]
	s_or_b32 s15, vcc_lo, s15
	s_wait_alu 0xfffe
	s_and_not1_b32 exec_lo, exec_lo, s15
	s_cbranch_execz .LBB52_26
.LBB52_10:                              ; =>This Loop Header: Depth=1
                                        ;     Child Loop BB52_14 Depth 2
                                        ;       Child Loop BB52_17 Depth 3
	v_mov_b32_e32 v16, 0
	s_and_not1_b32 vcc_lo, exec_lo, s34
	s_wait_alu 0xfffe
	s_cbranch_vccnz .LBB52_21
; %bb.11:                               ;   in Loop: Header=BB52_10 Depth=1
	s_wait_dscnt 0x0
	v_mov_b32_e32 v8, v6
	v_dual_mov_b32 v16, 0 :: v_dual_mov_b32 v7, v5
	s_mov_b64 s[2:3], s[4:5]
	s_branch .LBB52_14
.LBB52_12:                              ;   in Loop: Header=BB52_14 Depth=2
	s_or_b32 exec_lo, exec_lo, s36
.LBB52_13:                              ;   in Loop: Header=BB52_14 Depth=2
	s_delay_alu instid0(SALU_CYCLE_1)
	s_or_b32 exec_lo, exec_lo, s35
	s_wait_alu 0xfffe
	s_add_nc_u64 s[2:3], s[2:3], 1
	v_add_co_u32 v7, vcc_lo, v7, s26
	s_wait_alu 0xfffe
	v_cmp_ge_i64_e64 s28, s[2:3], s[6:7]
	s_wait_alu 0xfffd
	v_add_co_ci_u32_e64 v8, null, s27, v8, vcc_lo
	s_and_b32 vcc_lo, exec_lo, s28
	s_wait_alu 0xfffe
	s_cbranch_vccnz .LBB52_21
.LBB52_14:                              ;   Parent Loop BB52_10 Depth=1
                                        ; =>  This Loop Header: Depth=2
                                        ;       Child Loop BB52_17 Depth 3
	s_and_saveexec_b32 s35, s0
	s_cbranch_execz .LBB52_13
; %bb.15:                               ;   in Loop: Header=BB52_14 Depth=2
	s_wait_alu 0xfffe
	s_lshl_b64 s[28:29], s[2:3], 3
	v_dual_mov_b32 v10, v4 :: v_dual_mov_b32 v9, v3
	s_wait_alu 0xfffe
	s_add_nc_u64 s[28:29], s[8:9], s[28:29]
	s_mov_b32 s36, 0
	s_load_b64 s[28:29], s[28:29], 0x0
	s_wait_kmcnt 0x0
	s_sub_nc_u64 s[28:29], s[28:29], s[12:13]
	s_wait_alu 0xfffe
	s_mul_u64 s[30:31], s[28:29], s[18:19]
	s_mul_u64 s[28:29], s[2:3], s[18:19]
	s_wait_alu 0xfffe
	s_add_nc_u64 s[30:31], s[20:21], s[30:31]
	s_branch .LBB52_17
.LBB52_16:                              ;   in Loop: Header=BB52_17 Depth=3
	s_delay_alu instid0(VALU_DEP_2) | instskip(SKIP_1) | instid1(VALU_DEP_2)
	v_add_co_u32 v11, vcc_lo, s10, v11
	s_wait_alu 0xfffd
	v_add_co_ci_u32_e64 v12, null, s11, v12, vcc_lo
	v_add_co_u32 v17, vcc_lo, s30, v9
	s_wait_alu 0xfffd
	v_add_co_ci_u32_e64 v18, null, s31, v10, vcc_lo
	global_load_i8 v11, v[11:12], off
	global_load_i8 v12, v[17:18], off
	v_add_co_u32 v9, vcc_lo, v9, 16
	s_wait_alu 0xfffd
	v_add_co_ci_u32_e64 v10, null, 0, v10, vcc_lo
	s_delay_alu instid0(VALU_DEP_1)
	v_cmp_le_i64_e32 vcc_lo, s[18:19], v[9:10]
	s_or_b32 s36, vcc_lo, s36
	s_wait_loadcnt 0x1
	v_cvt_f32_i32_e32 v11, v11
	s_wait_loadcnt 0x0
	v_cvt_f32_i32_e32 v12, v12
	s_delay_alu instid0(VALU_DEP_1)
	v_fmac_f32_e32 v16, v11, v12
	s_and_not1_b32 exec_lo, exec_lo, s36
	s_cbranch_execz .LBB52_12
.LBB52_17:                              ;   Parent Loop BB52_10 Depth=1
                                        ;     Parent Loop BB52_14 Depth=2
                                        ; =>    This Inner Loop Header: Depth=3
	s_and_b32 vcc_lo, exec_lo, s17
	s_wait_alu 0xfffe
	s_cbranch_vccz .LBB52_19
; %bb.18:                               ;   in Loop: Header=BB52_17 Depth=3
	v_add_co_u32 v11, vcc_lo, v9, s28
	s_wait_alu 0xfffd
	v_add_co_ci_u32_e64 v12, null, s29, v10, vcc_lo
	s_delay_alu instid0(VALU_DEP_2) | instskip(NEXT) | instid1(VALU_DEP_2)
	v_mul_lo_u32 v17, v11, s19
	v_mul_lo_u32 v18, v12, s18
	v_mad_co_u64_u32 v[11:12], null, v11, s18, v[1:2]
	s_delay_alu instid0(VALU_DEP_1)
	v_add3_u32 v12, v18, v12, v17
	s_cbranch_execnz .LBB52_16
	s_branch .LBB52_20
.LBB52_19:                              ;   in Loop: Header=BB52_17 Depth=3
                                        ; implicit-def: $vgpr11_vgpr12
.LBB52_20:                              ;   in Loop: Header=BB52_17 Depth=3
	v_add_co_u32 v11, vcc_lo, v7, v9
	s_wait_alu 0xfffd
	v_add_co_ci_u32_e64 v12, null, v8, v10, vcc_lo
	s_branch .LBB52_16
.LBB52_21:                              ;   in Loop: Header=BB52_10 Depth=1
	ds_bpermute_b32 v7, v0, v16
	s_wait_dscnt 0x0
	v_add_f32_e32 v7, v16, v7
	ds_bpermute_b32 v8, v13, v7
	s_wait_dscnt 0x0
	v_add_f32_e32 v7, v7, v8
	;; [unrolled: 3-line block ×3, first 2 shown]
	ds_bpermute_b32 v8, v15, v7
	s_and_saveexec_b32 s2, s1
	s_cbranch_execz .LBB52_9
; %bb.22:                               ;   in Loop: Header=BB52_10 Depth=1
	s_wait_dscnt 0x0
	v_add_f32_e32 v9, v7, v8
	v_lshlrev_b64_e32 v[7:8], 2, v[1:2]
	s_and_b32 vcc_lo, exec_lo, s33
	s_delay_alu instid0(VALU_DEP_2)
	v_mul_f32_e32 v9, s14, v9
	s_wait_alu 0xfffe
	s_cbranch_vccz .LBB52_24
; %bb.23:                               ;   in Loop: Header=BB52_10 Depth=1
	s_delay_alu instid0(VALU_DEP_2)
	v_add_co_u32 v10, vcc_lo, s22, v7
	s_wait_alu 0xfffd
	v_add_co_ci_u32_e64 v11, null, s23, v8, vcc_lo
	global_store_b32 v[10:11], v9, off
	s_cbranch_execnz .LBB52_9
	s_branch .LBB52_25
.LBB52_24:                              ;   in Loop: Header=BB52_10 Depth=1
.LBB52_25:                              ;   in Loop: Header=BB52_10 Depth=1
	s_delay_alu instid0(VALU_DEP_2)
	v_add_co_u32 v7, vcc_lo, s22, v7
	s_wait_alu 0xfffd
	v_add_co_ci_u32_e64 v8, null, s23, v8, vcc_lo
	global_load_b32 v10, v[7:8], off
	s_wait_loadcnt 0x0
	v_fmac_f32_e32 v9, s16, v10
	global_store_b32 v[7:8], v9, off
	s_branch .LBB52_9
.LBB52_26:
	s_endpgm
	.section	.rodata,"a",@progbits
	.p2align	6, 0x0
	.amdhsa_kernel _ZN9rocsparseL22bsrxmvn_general_kernelILj256ELj16EfllaafEEv20rocsparse_direction_NS_24const_host_device_scalarIT1_EET3_PKS5_PKT2_SA_S7_PKT4_S5_PKT5_S4_PT6_21rocsparse_index_base_b
		.amdhsa_group_segment_fixed_size 0
		.amdhsa_private_segment_fixed_size 0
		.amdhsa_kernarg_size 104
		.amdhsa_user_sgpr_count 2
		.amdhsa_user_sgpr_dispatch_ptr 0
		.amdhsa_user_sgpr_queue_ptr 0
		.amdhsa_user_sgpr_kernarg_segment_ptr 1
		.amdhsa_user_sgpr_dispatch_id 0
		.amdhsa_user_sgpr_private_segment_size 0
		.amdhsa_wavefront_size32 1
		.amdhsa_uses_dynamic_stack 0
		.amdhsa_enable_private_segment 0
		.amdhsa_system_sgpr_workgroup_id_x 1
		.amdhsa_system_sgpr_workgroup_id_y 0
		.amdhsa_system_sgpr_workgroup_id_z 0
		.amdhsa_system_sgpr_workgroup_info 0
		.amdhsa_system_vgpr_workitem_id 0
		.amdhsa_next_free_vgpr 19
		.amdhsa_next_free_sgpr 37
		.amdhsa_reserve_vcc 1
		.amdhsa_float_round_mode_32 0
		.amdhsa_float_round_mode_16_64 0
		.amdhsa_float_denorm_mode_32 3
		.amdhsa_float_denorm_mode_16_64 3
		.amdhsa_fp16_overflow 0
		.amdhsa_workgroup_processor_mode 1
		.amdhsa_memory_ordered 1
		.amdhsa_forward_progress 1
		.amdhsa_inst_pref_size 10
		.amdhsa_round_robin_scheduling 0
		.amdhsa_exception_fp_ieee_invalid_op 0
		.amdhsa_exception_fp_denorm_src 0
		.amdhsa_exception_fp_ieee_div_zero 0
		.amdhsa_exception_fp_ieee_overflow 0
		.amdhsa_exception_fp_ieee_underflow 0
		.amdhsa_exception_fp_ieee_inexact 0
		.amdhsa_exception_int_div_zero 0
	.end_amdhsa_kernel
	.section	.text._ZN9rocsparseL22bsrxmvn_general_kernelILj256ELj16EfllaafEEv20rocsparse_direction_NS_24const_host_device_scalarIT1_EET3_PKS5_PKT2_SA_S7_PKT4_S5_PKT5_S4_PT6_21rocsparse_index_base_b,"axG",@progbits,_ZN9rocsparseL22bsrxmvn_general_kernelILj256ELj16EfllaafEEv20rocsparse_direction_NS_24const_host_device_scalarIT1_EET3_PKS5_PKT2_SA_S7_PKT4_S5_PKT5_S4_PT6_21rocsparse_index_base_b,comdat
.Lfunc_end52:
	.size	_ZN9rocsparseL22bsrxmvn_general_kernelILj256ELj16EfllaafEEv20rocsparse_direction_NS_24const_host_device_scalarIT1_EET3_PKS5_PKT2_SA_S7_PKT4_S5_PKT5_S4_PT6_21rocsparse_index_base_b, .Lfunc_end52-_ZN9rocsparseL22bsrxmvn_general_kernelILj256ELj16EfllaafEEv20rocsparse_direction_NS_24const_host_device_scalarIT1_EET3_PKS5_PKT2_SA_S7_PKT4_S5_PKT5_S4_PT6_21rocsparse_index_base_b
                                        ; -- End function
	.set _ZN9rocsparseL22bsrxmvn_general_kernelILj256ELj16EfllaafEEv20rocsparse_direction_NS_24const_host_device_scalarIT1_EET3_PKS5_PKT2_SA_S7_PKT4_S5_PKT5_S4_PT6_21rocsparse_index_base_b.num_vgpr, 19
	.set _ZN9rocsparseL22bsrxmvn_general_kernelILj256ELj16EfllaafEEv20rocsparse_direction_NS_24const_host_device_scalarIT1_EET3_PKS5_PKT2_SA_S7_PKT4_S5_PKT5_S4_PT6_21rocsparse_index_base_b.num_agpr, 0
	.set _ZN9rocsparseL22bsrxmvn_general_kernelILj256ELj16EfllaafEEv20rocsparse_direction_NS_24const_host_device_scalarIT1_EET3_PKS5_PKT2_SA_S7_PKT4_S5_PKT5_S4_PT6_21rocsparse_index_base_b.numbered_sgpr, 37
	.set _ZN9rocsparseL22bsrxmvn_general_kernelILj256ELj16EfllaafEEv20rocsparse_direction_NS_24const_host_device_scalarIT1_EET3_PKS5_PKT2_SA_S7_PKT4_S5_PKT5_S4_PT6_21rocsparse_index_base_b.num_named_barrier, 0
	.set _ZN9rocsparseL22bsrxmvn_general_kernelILj256ELj16EfllaafEEv20rocsparse_direction_NS_24const_host_device_scalarIT1_EET3_PKS5_PKT2_SA_S7_PKT4_S5_PKT5_S4_PT6_21rocsparse_index_base_b.private_seg_size, 0
	.set _ZN9rocsparseL22bsrxmvn_general_kernelILj256ELj16EfllaafEEv20rocsparse_direction_NS_24const_host_device_scalarIT1_EET3_PKS5_PKT2_SA_S7_PKT4_S5_PKT5_S4_PT6_21rocsparse_index_base_b.uses_vcc, 1
	.set _ZN9rocsparseL22bsrxmvn_general_kernelILj256ELj16EfllaafEEv20rocsparse_direction_NS_24const_host_device_scalarIT1_EET3_PKS5_PKT2_SA_S7_PKT4_S5_PKT5_S4_PT6_21rocsparse_index_base_b.uses_flat_scratch, 0
	.set _ZN9rocsparseL22bsrxmvn_general_kernelILj256ELj16EfllaafEEv20rocsparse_direction_NS_24const_host_device_scalarIT1_EET3_PKS5_PKT2_SA_S7_PKT4_S5_PKT5_S4_PT6_21rocsparse_index_base_b.has_dyn_sized_stack, 0
	.set _ZN9rocsparseL22bsrxmvn_general_kernelILj256ELj16EfllaafEEv20rocsparse_direction_NS_24const_host_device_scalarIT1_EET3_PKS5_PKT2_SA_S7_PKT4_S5_PKT5_S4_PT6_21rocsparse_index_base_b.has_recursion, 0
	.set _ZN9rocsparseL22bsrxmvn_general_kernelILj256ELj16EfllaafEEv20rocsparse_direction_NS_24const_host_device_scalarIT1_EET3_PKS5_PKT2_SA_S7_PKT4_S5_PKT5_S4_PT6_21rocsparse_index_base_b.has_indirect_call, 0
	.section	.AMDGPU.csdata,"",@progbits
; Kernel info:
; codeLenInByte = 1228
; TotalNumSgprs: 39
; NumVgprs: 19
; ScratchSize: 0
; MemoryBound: 0
; FloatMode: 240
; IeeeMode: 1
; LDSByteSize: 0 bytes/workgroup (compile time only)
; SGPRBlocks: 0
; VGPRBlocks: 2
; NumSGPRsForWavesPerEU: 39
; NumVGPRsForWavesPerEU: 19
; Occupancy: 16
; WaveLimiterHint : 1
; COMPUTE_PGM_RSRC2:SCRATCH_EN: 0
; COMPUTE_PGM_RSRC2:USER_SGPR: 2
; COMPUTE_PGM_RSRC2:TRAP_HANDLER: 0
; COMPUTE_PGM_RSRC2:TGID_X_EN: 1
; COMPUTE_PGM_RSRC2:TGID_Y_EN: 0
; COMPUTE_PGM_RSRC2:TGID_Z_EN: 0
; COMPUTE_PGM_RSRC2:TIDIG_COMP_CNT: 0
	.section	.text._ZN9rocsparseL22bsrxmvn_general_kernelILj1024ELj32EfllaafEEv20rocsparse_direction_NS_24const_host_device_scalarIT1_EET3_PKS5_PKT2_SA_S7_PKT4_S5_PKT5_S4_PT6_21rocsparse_index_base_b,"axG",@progbits,_ZN9rocsparseL22bsrxmvn_general_kernelILj1024ELj32EfllaafEEv20rocsparse_direction_NS_24const_host_device_scalarIT1_EET3_PKS5_PKT2_SA_S7_PKT4_S5_PKT5_S4_PT6_21rocsparse_index_base_b,comdat
	.globl	_ZN9rocsparseL22bsrxmvn_general_kernelILj1024ELj32EfllaafEEv20rocsparse_direction_NS_24const_host_device_scalarIT1_EET3_PKS5_PKT2_SA_S7_PKT4_S5_PKT5_S4_PT6_21rocsparse_index_base_b ; -- Begin function _ZN9rocsparseL22bsrxmvn_general_kernelILj1024ELj32EfllaafEEv20rocsparse_direction_NS_24const_host_device_scalarIT1_EET3_PKS5_PKT2_SA_S7_PKT4_S5_PKT5_S4_PT6_21rocsparse_index_base_b
	.p2align	8
	.type	_ZN9rocsparseL22bsrxmvn_general_kernelILj1024ELj32EfllaafEEv20rocsparse_direction_NS_24const_host_device_scalarIT1_EET3_PKS5_PKT2_SA_S7_PKT4_S5_PKT5_S4_PT6_21rocsparse_index_base_b,@function
_ZN9rocsparseL22bsrxmvn_general_kernelILj1024ELj32EfllaafEEv20rocsparse_direction_NS_24const_host_device_scalarIT1_EET3_PKS5_PKT2_SA_S7_PKT4_S5_PKT5_S4_PT6_21rocsparse_index_base_b: ; @_ZN9rocsparseL22bsrxmvn_general_kernelILj1024ELj32EfllaafEEv20rocsparse_direction_NS_24const_host_device_scalarIT1_EET3_PKS5_PKT2_SA_S7_PKT4_S5_PKT5_S4_PT6_21rocsparse_index_base_b
; %bb.0:
	s_clause 0x2
	s_load_b64 s[12:13], s[0:1], 0x60
	s_load_b64 s[14:15], s[0:1], 0x8
	;; [unrolled: 1-line block ×3, first 2 shown]
	s_wait_kmcnt 0x0
	s_bitcmp1_b32 s13, 0
	s_cselect_b32 s2, -1, 0
	s_delay_alu instid0(SALU_CYCLE_1)
	s_and_b32 vcc_lo, exec_lo, s2
	s_xor_b32 s2, s2, -1
	s_cbranch_vccnz .LBB53_2
; %bb.1:
	s_load_b32 s14, s[14:15], 0x0
.LBB53_2:
	s_and_not1_b32 vcc_lo, exec_lo, s2
	s_cbranch_vccnz .LBB53_4
; %bb.3:
	s_load_b32 s16, s[16:17], 0x0
.LBB53_4:
	s_wait_kmcnt 0x0
	s_cmp_neq_f32 s14, 0
	s_mov_b32 s23, 0
	s_cselect_b32 s2, -1, 0
	s_cmp_neq_f32 s16, 1.0
	s_cselect_b32 s3, -1, 0
	s_delay_alu instid0(SALU_CYCLE_1) | instskip(NEXT) | instid1(SALU_CYCLE_1)
	s_or_b32 s2, s2, s3
	s_and_not1_b32 vcc_lo, exec_lo, s2
	s_cbranch_vccnz .LBB53_26
; %bb.5:
	s_load_b64 s[2:3], s[0:1], 0x18
	s_mov_b32 s22, ttmp9
	s_mov_b32 s13, s23
	s_wait_kmcnt 0x0
	s_cmp_eq_u64 s[2:3], 0
	s_cbranch_scc1 .LBB53_7
; %bb.6:
	s_lshl_b64 s[4:5], s[22:23], 3
	s_delay_alu instid0(SALU_CYCLE_1)
	s_add_nc_u64 s[2:3], s[2:3], s[4:5]
	s_load_b64 s[2:3], s[2:3], 0x0
	s_wait_kmcnt 0x0
	s_sub_nc_u64 s[22:23], s[2:3], s[12:13]
.LBB53_7:
	s_load_b64 s[18:19], s[0:1], 0x40
	v_lshrrev_b32_e32 v1, 5, v0
	v_mov_b32_e32 v2, 0
	s_mov_b32 s2, exec_lo
	s_wait_kmcnt 0x0
	s_delay_alu instid0(VALU_DEP_1)
	v_cmpx_gt_i64_e64 s[18:19], v[1:2]
	s_cbranch_execz .LBB53_26
; %bb.8:
	s_clause 0x2
	s_load_b256 s[4:11], s[0:1], 0x20
	s_load_b64 s[2:3], s[0:1], 0x58
	s_load_b64 s[20:21], s[0:1], 0x48
	v_dual_mov_b32 v4, v2 :: v_dual_and_b32 v3, 31, v0
	v_mbcnt_lo_u32_b32 v0, -1, 0
	s_lshl_b64 s[24:25], s[22:23], 3
	s_load_b32 s17, s[0:1], 0x0
	s_mul_u64 s[22:23], s[22:23], s[18:19]
	v_cmp_gt_u64_e64 s0, s[18:19], v[3:4]
	v_xor_b32_e32 v5, 16, v0
	v_xor_b32_e32 v6, 8, v0
	;; [unrolled: 1-line block ×5, first 2 shown]
	v_cmp_gt_i32_e32 vcc_lo, 32, v5
	v_cmp_eq_u32_e64 s1, 31, v3
	s_mov_b32 s15, 0
	v_cndmask_b32_e32 v10, v0, v5, vcc_lo
	s_wait_kmcnt 0x0
	s_add_nc_u64 s[4:5], s[4:5], s[24:25]
	v_cmp_gt_i32_e32 vcc_lo, 32, v6
	s_load_b64 s[26:27], s[4:5], 0x0
	s_add_nc_u64 s[24:25], s[6:7], s[24:25]
	s_cmp_eq_u64 s[6:7], 0
	s_add_nc_u64 s[4:5], s[4:5], 8
	v_cndmask_b32_e32 v11, v0, v6, vcc_lo
	v_cmp_gt_i32_e32 vcc_lo, 32, v7
	s_cselect_b32 s5, s5, s25
	s_cselect_b32 s4, s4, s24
	s_cmp_lg_u32 s17, 0
	s_load_b64 s[24:25], s[4:5], 0x0
	v_cndmask_b32_e32 v7, v0, v7, vcc_lo
	v_cmp_gt_i32_e32 vcc_lo, 32, v8
	s_cselect_b32 s17, -1, 0
	s_cmp_eq_f32 s16, 0
	s_delay_alu instid0(VALU_DEP_2)
	v_lshlrev_b32_e32 v14, 2, v7
	s_wait_alu 0xfffd
	v_cndmask_b32_e32 v8, v0, v8, vcc_lo
	v_cmp_gt_i32_e32 vcc_lo, 32, v9
	v_lshlrev_b32_e32 v13, 2, v11
	s_cselect_b32 s33, -1, 0
	s_wait_kmcnt 0x0
	s_sub_nc_u64 s[4:5], s[26:27], s[12:13]
	v_lshlrev_b32_e32 v15, 2, v8
	v_mad_co_u64_u32 v[5:6], null, s18, s4, v[1:2]
	s_mul_i32 s6, s19, s4
	s_mul_i32 s7, s18, s5
	s_wait_alu 0xfffd
	v_dual_cndmask_b32 v9, v0, v9 :: v_dual_lshlrev_b32 v0, 2, v10
	s_lshl_b64 s[22:23], s[22:23], 2
	v_cmp_lt_i64_e64 s34, s[26:27], s[24:25]
	v_add3_u32 v10, s7, s6, v6
	v_mul_lo_u32 v11, s19, v5
	v_mad_co_u64_u32 v[5:6], null, s18, v5, 0
	v_lshlrev_b32_e32 v16, 2, v9
	s_delay_alu instid0(VALU_DEP_4) | instskip(SKIP_4) | instid1(VALU_DEP_1)
	v_mul_lo_u32 v10, s18, v10
	s_sub_nc_u64 s[6:7], s[24:25], s[12:13]
	s_add_nc_u64 s[22:23], s[2:3], s[22:23]
	s_lshl_b64 s[24:25], s[18:19], 5
	s_mul_u64 s[26:27], s[18:19], s[18:19]
	v_add3_u32 v6, v6, v10, v11
	s_branch .LBB53_10
.LBB53_9:                               ;   in Loop: Header=BB53_10 Depth=1
	s_wait_alu 0xfffe
	s_or_b32 exec_lo, exec_lo, s2
	v_add_co_u32 v1, vcc_lo, v1, 32
	s_wait_alu 0xfffd
	v_add_co_ci_u32_e64 v2, null, 0, v2, vcc_lo
	v_add_co_u32 v5, s2, v5, s24
	s_wait_alu 0xf1ff
	v_add_co_ci_u32_e64 v6, null, s25, v6, s2
	s_delay_alu instid0(VALU_DEP_3)
	v_cmp_le_i64_e32 vcc_lo, s[18:19], v[1:2]
	s_or_b32 s15, vcc_lo, s15
	s_wait_alu 0xfffe
	s_and_not1_b32 exec_lo, exec_lo, s15
	s_cbranch_execz .LBB53_26
.LBB53_10:                              ; =>This Loop Header: Depth=1
                                        ;     Child Loop BB53_14 Depth 2
                                        ;       Child Loop BB53_17 Depth 3
	v_mov_b32_e32 v17, 0
	s_and_not1_b32 vcc_lo, exec_lo, s34
	s_wait_alu 0xfffe
	s_cbranch_vccnz .LBB53_21
; %bb.11:                               ;   in Loop: Header=BB53_10 Depth=1
	s_wait_dscnt 0x0
	v_dual_mov_b32 v17, 0 :: v_dual_mov_b32 v8, v6
	v_mov_b32_e32 v7, v5
	s_mov_b64 s[2:3], s[4:5]
	s_branch .LBB53_14
.LBB53_12:                              ;   in Loop: Header=BB53_14 Depth=2
	s_or_b32 exec_lo, exec_lo, s36
.LBB53_13:                              ;   in Loop: Header=BB53_14 Depth=2
	s_delay_alu instid0(SALU_CYCLE_1)
	s_or_b32 exec_lo, exec_lo, s35
	s_wait_alu 0xfffe
	s_add_nc_u64 s[2:3], s[2:3], 1
	v_add_co_u32 v7, vcc_lo, v7, s26
	s_wait_alu 0xfffe
	v_cmp_ge_i64_e64 s28, s[2:3], s[6:7]
	s_wait_alu 0xfffd
	v_add_co_ci_u32_e64 v8, null, s27, v8, vcc_lo
	s_and_b32 vcc_lo, exec_lo, s28
	s_wait_alu 0xfffe
	s_cbranch_vccnz .LBB53_21
.LBB53_14:                              ;   Parent Loop BB53_10 Depth=1
                                        ; =>  This Loop Header: Depth=2
                                        ;       Child Loop BB53_17 Depth 3
	s_and_saveexec_b32 s35, s0
	s_cbranch_execz .LBB53_13
; %bb.15:                               ;   in Loop: Header=BB53_14 Depth=2
	s_wait_alu 0xfffe
	s_lshl_b64 s[28:29], s[2:3], 3
	v_dual_mov_b32 v10, v4 :: v_dual_mov_b32 v9, v3
	s_wait_alu 0xfffe
	s_add_nc_u64 s[28:29], s[8:9], s[28:29]
	s_mov_b32 s36, 0
	s_load_b64 s[28:29], s[28:29], 0x0
	s_wait_kmcnt 0x0
	s_sub_nc_u64 s[28:29], s[28:29], s[12:13]
	s_wait_alu 0xfffe
	s_mul_u64 s[30:31], s[28:29], s[18:19]
	s_mul_u64 s[28:29], s[2:3], s[18:19]
	s_wait_alu 0xfffe
	s_add_nc_u64 s[30:31], s[20:21], s[30:31]
	s_branch .LBB53_17
.LBB53_16:                              ;   in Loop: Header=BB53_17 Depth=3
	s_delay_alu instid0(VALU_DEP_2) | instskip(SKIP_1) | instid1(VALU_DEP_2)
	v_add_co_u32 v11, vcc_lo, s10, v11
	s_wait_alu 0xfffd
	v_add_co_ci_u32_e64 v12, null, s11, v12, vcc_lo
	v_add_co_u32 v18, vcc_lo, s30, v9
	s_wait_alu 0xfffd
	v_add_co_ci_u32_e64 v19, null, s31, v10, vcc_lo
	global_load_i8 v11, v[11:12], off
	global_load_i8 v12, v[18:19], off
	v_add_co_u32 v9, vcc_lo, v9, 32
	s_wait_alu 0xfffd
	v_add_co_ci_u32_e64 v10, null, 0, v10, vcc_lo
	s_delay_alu instid0(VALU_DEP_1)
	v_cmp_le_i64_e32 vcc_lo, s[18:19], v[9:10]
	s_or_b32 s36, vcc_lo, s36
	s_wait_loadcnt 0x1
	v_cvt_f32_i32_e32 v11, v11
	s_wait_loadcnt 0x0
	v_cvt_f32_i32_e32 v12, v12
	s_delay_alu instid0(VALU_DEP_1)
	v_fmac_f32_e32 v17, v11, v12
	s_and_not1_b32 exec_lo, exec_lo, s36
	s_cbranch_execz .LBB53_12
.LBB53_17:                              ;   Parent Loop BB53_10 Depth=1
                                        ;     Parent Loop BB53_14 Depth=2
                                        ; =>    This Inner Loop Header: Depth=3
	s_and_b32 vcc_lo, exec_lo, s17
	s_wait_alu 0xfffe
	s_cbranch_vccz .LBB53_19
; %bb.18:                               ;   in Loop: Header=BB53_17 Depth=3
	v_add_co_u32 v11, vcc_lo, v9, s28
	s_wait_alu 0xfffd
	v_add_co_ci_u32_e64 v12, null, s29, v10, vcc_lo
	s_delay_alu instid0(VALU_DEP_2) | instskip(NEXT) | instid1(VALU_DEP_2)
	v_mul_lo_u32 v18, v11, s19
	v_mul_lo_u32 v19, v12, s18
	v_mad_co_u64_u32 v[11:12], null, v11, s18, v[1:2]
	s_delay_alu instid0(VALU_DEP_1)
	v_add3_u32 v12, v19, v12, v18
	s_cbranch_execnz .LBB53_16
	s_branch .LBB53_20
.LBB53_19:                              ;   in Loop: Header=BB53_17 Depth=3
                                        ; implicit-def: $vgpr11_vgpr12
.LBB53_20:                              ;   in Loop: Header=BB53_17 Depth=3
	v_add_co_u32 v11, vcc_lo, v7, v9
	s_wait_alu 0xfffd
	v_add_co_ci_u32_e64 v12, null, v8, v10, vcc_lo
	s_branch .LBB53_16
.LBB53_21:                              ;   in Loop: Header=BB53_10 Depth=1
	ds_bpermute_b32 v7, v0, v17
	s_wait_dscnt 0x0
	v_add_f32_e32 v7, v17, v7
	ds_bpermute_b32 v8, v13, v7
	s_wait_dscnt 0x0
	v_add_f32_e32 v7, v7, v8
	;; [unrolled: 3-line block ×4, first 2 shown]
	ds_bpermute_b32 v8, v16, v7
	s_and_saveexec_b32 s2, s1
	s_cbranch_execz .LBB53_9
; %bb.22:                               ;   in Loop: Header=BB53_10 Depth=1
	s_wait_dscnt 0x0
	v_add_f32_e32 v9, v7, v8
	v_lshlrev_b64_e32 v[7:8], 2, v[1:2]
	s_and_b32 vcc_lo, exec_lo, s33
	s_delay_alu instid0(VALU_DEP_2)
	v_mul_f32_e32 v9, s14, v9
	s_wait_alu 0xfffe
	s_cbranch_vccz .LBB53_24
; %bb.23:                               ;   in Loop: Header=BB53_10 Depth=1
	s_delay_alu instid0(VALU_DEP_2)
	v_add_co_u32 v10, vcc_lo, s22, v7
	s_wait_alu 0xfffd
	v_add_co_ci_u32_e64 v11, null, s23, v8, vcc_lo
	global_store_b32 v[10:11], v9, off
	s_cbranch_execnz .LBB53_9
	s_branch .LBB53_25
.LBB53_24:                              ;   in Loop: Header=BB53_10 Depth=1
.LBB53_25:                              ;   in Loop: Header=BB53_10 Depth=1
	s_delay_alu instid0(VALU_DEP_2)
	v_add_co_u32 v7, vcc_lo, s22, v7
	s_wait_alu 0xfffd
	v_add_co_ci_u32_e64 v8, null, s23, v8, vcc_lo
	global_load_b32 v10, v[7:8], off
	s_wait_loadcnt 0x0
	v_fmac_f32_e32 v9, s16, v10
	global_store_b32 v[7:8], v9, off
	s_branch .LBB53_9
.LBB53_26:
	s_endpgm
	.section	.rodata,"a",@progbits
	.p2align	6, 0x0
	.amdhsa_kernel _ZN9rocsparseL22bsrxmvn_general_kernelILj1024ELj32EfllaafEEv20rocsparse_direction_NS_24const_host_device_scalarIT1_EET3_PKS5_PKT2_SA_S7_PKT4_S5_PKT5_S4_PT6_21rocsparse_index_base_b
		.amdhsa_group_segment_fixed_size 0
		.amdhsa_private_segment_fixed_size 0
		.amdhsa_kernarg_size 104
		.amdhsa_user_sgpr_count 2
		.amdhsa_user_sgpr_dispatch_ptr 0
		.amdhsa_user_sgpr_queue_ptr 0
		.amdhsa_user_sgpr_kernarg_segment_ptr 1
		.amdhsa_user_sgpr_dispatch_id 0
		.amdhsa_user_sgpr_private_segment_size 0
		.amdhsa_wavefront_size32 1
		.amdhsa_uses_dynamic_stack 0
		.amdhsa_enable_private_segment 0
		.amdhsa_system_sgpr_workgroup_id_x 1
		.amdhsa_system_sgpr_workgroup_id_y 0
		.amdhsa_system_sgpr_workgroup_id_z 0
		.amdhsa_system_sgpr_workgroup_info 0
		.amdhsa_system_vgpr_workitem_id 0
		.amdhsa_next_free_vgpr 20
		.amdhsa_next_free_sgpr 37
		.amdhsa_reserve_vcc 1
		.amdhsa_float_round_mode_32 0
		.amdhsa_float_round_mode_16_64 0
		.amdhsa_float_denorm_mode_32 3
		.amdhsa_float_denorm_mode_16_64 3
		.amdhsa_fp16_overflow 0
		.amdhsa_workgroup_processor_mode 1
		.amdhsa_memory_ordered 1
		.amdhsa_forward_progress 1
		.amdhsa_inst_pref_size 10
		.amdhsa_round_robin_scheduling 0
		.amdhsa_exception_fp_ieee_invalid_op 0
		.amdhsa_exception_fp_denorm_src 0
		.amdhsa_exception_fp_ieee_div_zero 0
		.amdhsa_exception_fp_ieee_overflow 0
		.amdhsa_exception_fp_ieee_underflow 0
		.amdhsa_exception_fp_ieee_inexact 0
		.amdhsa_exception_int_div_zero 0
	.end_amdhsa_kernel
	.section	.text._ZN9rocsparseL22bsrxmvn_general_kernelILj1024ELj32EfllaafEEv20rocsparse_direction_NS_24const_host_device_scalarIT1_EET3_PKS5_PKT2_SA_S7_PKT4_S5_PKT5_S4_PT6_21rocsparse_index_base_b,"axG",@progbits,_ZN9rocsparseL22bsrxmvn_general_kernelILj1024ELj32EfllaafEEv20rocsparse_direction_NS_24const_host_device_scalarIT1_EET3_PKS5_PKT2_SA_S7_PKT4_S5_PKT5_S4_PT6_21rocsparse_index_base_b,comdat
.Lfunc_end53:
	.size	_ZN9rocsparseL22bsrxmvn_general_kernelILj1024ELj32EfllaafEEv20rocsparse_direction_NS_24const_host_device_scalarIT1_EET3_PKS5_PKT2_SA_S7_PKT4_S5_PKT5_S4_PT6_21rocsparse_index_base_b, .Lfunc_end53-_ZN9rocsparseL22bsrxmvn_general_kernelILj1024ELj32EfllaafEEv20rocsparse_direction_NS_24const_host_device_scalarIT1_EET3_PKS5_PKT2_SA_S7_PKT4_S5_PKT5_S4_PT6_21rocsparse_index_base_b
                                        ; -- End function
	.set _ZN9rocsparseL22bsrxmvn_general_kernelILj1024ELj32EfllaafEEv20rocsparse_direction_NS_24const_host_device_scalarIT1_EET3_PKS5_PKT2_SA_S7_PKT4_S5_PKT5_S4_PT6_21rocsparse_index_base_b.num_vgpr, 20
	.set _ZN9rocsparseL22bsrxmvn_general_kernelILj1024ELj32EfllaafEEv20rocsparse_direction_NS_24const_host_device_scalarIT1_EET3_PKS5_PKT2_SA_S7_PKT4_S5_PKT5_S4_PT6_21rocsparse_index_base_b.num_agpr, 0
	.set _ZN9rocsparseL22bsrxmvn_general_kernelILj1024ELj32EfllaafEEv20rocsparse_direction_NS_24const_host_device_scalarIT1_EET3_PKS5_PKT2_SA_S7_PKT4_S5_PKT5_S4_PT6_21rocsparse_index_base_b.numbered_sgpr, 37
	.set _ZN9rocsparseL22bsrxmvn_general_kernelILj1024ELj32EfllaafEEv20rocsparse_direction_NS_24const_host_device_scalarIT1_EET3_PKS5_PKT2_SA_S7_PKT4_S5_PKT5_S4_PT6_21rocsparse_index_base_b.num_named_barrier, 0
	.set _ZN9rocsparseL22bsrxmvn_general_kernelILj1024ELj32EfllaafEEv20rocsparse_direction_NS_24const_host_device_scalarIT1_EET3_PKS5_PKT2_SA_S7_PKT4_S5_PKT5_S4_PT6_21rocsparse_index_base_b.private_seg_size, 0
	.set _ZN9rocsparseL22bsrxmvn_general_kernelILj1024ELj32EfllaafEEv20rocsparse_direction_NS_24const_host_device_scalarIT1_EET3_PKS5_PKT2_SA_S7_PKT4_S5_PKT5_S4_PT6_21rocsparse_index_base_b.uses_vcc, 1
	.set _ZN9rocsparseL22bsrxmvn_general_kernelILj1024ELj32EfllaafEEv20rocsparse_direction_NS_24const_host_device_scalarIT1_EET3_PKS5_PKT2_SA_S7_PKT4_S5_PKT5_S4_PT6_21rocsparse_index_base_b.uses_flat_scratch, 0
	.set _ZN9rocsparseL22bsrxmvn_general_kernelILj1024ELj32EfllaafEEv20rocsparse_direction_NS_24const_host_device_scalarIT1_EET3_PKS5_PKT2_SA_S7_PKT4_S5_PKT5_S4_PT6_21rocsparse_index_base_b.has_dyn_sized_stack, 0
	.set _ZN9rocsparseL22bsrxmvn_general_kernelILj1024ELj32EfllaafEEv20rocsparse_direction_NS_24const_host_device_scalarIT1_EET3_PKS5_PKT2_SA_S7_PKT4_S5_PKT5_S4_PT6_21rocsparse_index_base_b.has_recursion, 0
	.set _ZN9rocsparseL22bsrxmvn_general_kernelILj1024ELj32EfllaafEEv20rocsparse_direction_NS_24const_host_device_scalarIT1_EET3_PKS5_PKT2_SA_S7_PKT4_S5_PKT5_S4_PT6_21rocsparse_index_base_b.has_indirect_call, 0
	.section	.AMDGPU.csdata,"",@progbits
; Kernel info:
; codeLenInByte = 1256
; TotalNumSgprs: 39
; NumVgprs: 20
; ScratchSize: 0
; MemoryBound: 0
; FloatMode: 240
; IeeeMode: 1
; LDSByteSize: 0 bytes/workgroup (compile time only)
; SGPRBlocks: 0
; VGPRBlocks: 2
; NumSGPRsForWavesPerEU: 39
; NumVGPRsForWavesPerEU: 20
; Occupancy: 16
; WaveLimiterHint : 1
; COMPUTE_PGM_RSRC2:SCRATCH_EN: 0
; COMPUTE_PGM_RSRC2:USER_SGPR: 2
; COMPUTE_PGM_RSRC2:TRAP_HANDLER: 0
; COMPUTE_PGM_RSRC2:TGID_X_EN: 1
; COMPUTE_PGM_RSRC2:TGID_Y_EN: 0
; COMPUTE_PGM_RSRC2:TGID_Z_EN: 0
; COMPUTE_PGM_RSRC2:TIDIG_COMP_CNT: 0
	.section	.text._ZN9rocsparseL22bsrxmvn_general_kernelILj64ELj8EfiiDF16_DF16_fEEv20rocsparse_direction_NS_24const_host_device_scalarIT1_EET3_PKS5_PKT2_SA_S7_PKT4_S5_PKT5_S4_PT6_21rocsparse_index_base_b,"axG",@progbits,_ZN9rocsparseL22bsrxmvn_general_kernelILj64ELj8EfiiDF16_DF16_fEEv20rocsparse_direction_NS_24const_host_device_scalarIT1_EET3_PKS5_PKT2_SA_S7_PKT4_S5_PKT5_S4_PT6_21rocsparse_index_base_b,comdat
	.globl	_ZN9rocsparseL22bsrxmvn_general_kernelILj64ELj8EfiiDF16_DF16_fEEv20rocsparse_direction_NS_24const_host_device_scalarIT1_EET3_PKS5_PKT2_SA_S7_PKT4_S5_PKT5_S4_PT6_21rocsparse_index_base_b ; -- Begin function _ZN9rocsparseL22bsrxmvn_general_kernelILj64ELj8EfiiDF16_DF16_fEEv20rocsparse_direction_NS_24const_host_device_scalarIT1_EET3_PKS5_PKT2_SA_S7_PKT4_S5_PKT5_S4_PT6_21rocsparse_index_base_b
	.p2align	8
	.type	_ZN9rocsparseL22bsrxmvn_general_kernelILj64ELj8EfiiDF16_DF16_fEEv20rocsparse_direction_NS_24const_host_device_scalarIT1_EET3_PKS5_PKT2_SA_S7_PKT4_S5_PKT5_S4_PT6_21rocsparse_index_base_b,@function
_ZN9rocsparseL22bsrxmvn_general_kernelILj64ELj8EfiiDF16_DF16_fEEv20rocsparse_direction_NS_24const_host_device_scalarIT1_EET3_PKS5_PKT2_SA_S7_PKT4_S5_PKT5_S4_PT6_21rocsparse_index_base_b: ; @_ZN9rocsparseL22bsrxmvn_general_kernelILj64ELj8EfiiDF16_DF16_fEEv20rocsparse_direction_NS_24const_host_device_scalarIT1_EET3_PKS5_PKT2_SA_S7_PKT4_S5_PKT5_S4_PT6_21rocsparse_index_base_b
; %bb.0:
	s_clause 0x2
	s_load_b64 s[2:3], s[0:1], 0x60
	s_load_b64 s[12:13], s[0:1], 0x8
	;; [unrolled: 1-line block ×3, first 2 shown]
	s_wait_kmcnt 0x0
	s_bitcmp1_b32 s3, 0
	s_cselect_b32 s3, -1, 0
	s_delay_alu instid0(SALU_CYCLE_1)
	s_and_b32 vcc_lo, exec_lo, s3
	s_xor_b32 s3, s3, -1
	s_cbranch_vccnz .LBB54_2
; %bb.1:
	s_load_b32 s12, s[12:13], 0x0
.LBB54_2:
	s_and_not1_b32 vcc_lo, exec_lo, s3
	s_cbranch_vccnz .LBB54_4
; %bb.3:
	s_load_b32 s14, s[14:15], 0x0
.LBB54_4:
	s_wait_kmcnt 0x0
	s_cmp_neq_f32 s12, 0
	s_cselect_b32 s3, -1, 0
	s_cmp_neq_f32 s14, 1.0
	s_cselect_b32 s4, -1, 0
	s_delay_alu instid0(SALU_CYCLE_1) | instskip(NEXT) | instid1(SALU_CYCLE_1)
	s_or_b32 s3, s3, s4
	s_and_not1_b32 vcc_lo, exec_lo, s3
	s_cbranch_vccnz .LBB54_27
; %bb.5:
	s_load_b64 s[4:5], s[0:1], 0x18
	s_wait_kmcnt 0x0
	s_cmp_eq_u64 s[4:5], 0
	s_cbranch_scc1 .LBB54_7
; %bb.6:
	s_mov_b32 s6, ttmp9
	s_ashr_i32 s7, ttmp9, 31
	s_delay_alu instid0(SALU_CYCLE_1) | instskip(NEXT) | instid1(SALU_CYCLE_1)
	s_lshl_b64 s[6:7], s[6:7], 2
	s_add_nc_u64 s[4:5], s[4:5], s[6:7]
	s_load_b32 s3, s[4:5], 0x0
	s_wait_kmcnt 0x0
	s_sub_co_i32 s22, s3, s2
	s_branch .LBB54_8
.LBB54_7:
	s_mov_b32 s22, ttmp9
.LBB54_8:
	s_load_b32 s16, s[0:1], 0x40
	v_lshrrev_b32_e32 v1, 3, v0
	s_mov_b32 s3, exec_lo
	s_wait_kmcnt 0x0
	s_delay_alu instid0(VALU_DEP_1)
	v_cmpx_gt_i32_e64 s16, v1
	s_cbranch_execz .LBB54_27
; %bb.9:
	s_load_b256 s[4:11], s[0:1], 0x20
	s_ashr_i32 s23, s22, 31
	v_mbcnt_lo_u32_b32 v5, -1, 0
	s_lshl_b64 s[18:19], s[22:23], 2
	s_load_b32 s15, s[0:1], 0x0
	v_dual_mov_b32 v2, 0 :: v_dual_and_b32 v3, 7, v0
	s_delay_alu instid0(VALU_DEP_2)
	v_xor_b32_e32 v6, 4, v5
	v_xor_b32_e32 v7, 2, v5
	;; [unrolled: 1-line block ×3, first 2 shown]
	v_mul_lo_u32 v0, s16, v1
	v_mul_lo_u32 v11, s16, v3
	v_cmp_gt_i32_e32 vcc_lo, 32, v6
	s_mov_b32 s17, 0
	s_mul_i32 s27, s22, s16
	v_cndmask_b32_e32 v6, v5, v6, vcc_lo
	v_cmp_gt_i32_e32 vcc_lo, 32, v7
	v_mov_b32_e32 v4, v2
	s_wait_kmcnt 0x0
	s_add_nc_u64 s[4:5], s[4:5], s[18:19]
	s_add_nc_u64 s[18:19], s[6:7], s[18:19]
	s_load_b32 s13, s[4:5], 0x0
	s_add_nc_u64 s[20:21], s[4:5], 4
	v_cndmask_b32_e32 v7, v5, v7, vcc_lo
	v_cmp_gt_i32_e32 vcc_lo, 32, v8
	s_delay_alu instid0(VALU_DEP_2) | instskip(SKIP_2) | instid1(VALU_DEP_1)
	v_lshlrev_b32_e32 v13, 2, v7
	s_wait_alu 0xfffd
	v_dual_cndmask_b32 v5, v5, v8 :: v_dual_lshlrev_b32 v12, 2, v6
	v_lshlrev_b32_e32 v14, 2, v5
	s_wait_kmcnt 0x0
	s_sub_co_i32 s4, s13, s2
	s_cmp_eq_u64 s[6:7], 0
	s_cselect_b32 s7, s21, s19
	s_cselect_b32 s6, s20, s18
	s_load_b32 s5, s[6:7], 0x0
	s_clause 0x1
	s_load_b64 s[6:7], s[0:1], 0x58
	s_load_b64 s[18:19], s[0:1], 0x48
	v_cmp_gt_u32_e64 s0, s16, v3
	v_cmp_eq_u32_e64 s1, 7, v3
	s_mul_u64 s[20:21], s[16:17], s[16:17]
	s_wait_kmcnt 0x0
	s_sub_co_i32 s3, s5, s2
	s_cmp_lt_i32 s13, s5
	s_cselect_b32 s13, -1, 0
	s_cmp_lg_u32 s15, 0
	s_cselect_b32 s15, -1, 0
	s_cmp_eq_f32 s14, 0
	s_cselect_b32 s26, -1, 0
	s_ashr_i32 s5, s4, 31
	s_delay_alu instid0(SALU_CYCLE_1)
	s_mul_u64 s[22:23], s[4:5], s[20:21]
	s_lshl_b32 s5, s16, 3
	s_branch .LBB54_11
.LBB54_10:                              ;   in Loop: Header=BB54_11 Depth=1
	s_wait_alu 0xfffe
	s_or_b32 exec_lo, exec_lo, s24
	v_add_nc_u32_e32 v1, 8, v1
	v_add_nc_u32_e32 v0, s5, v0
	s_delay_alu instid0(VALU_DEP_2)
	v_cmp_le_i32_e32 vcc_lo, s16, v1
	s_or_b32 s17, vcc_lo, s17
	s_wait_alu 0xfffe
	s_and_not1_b32 exec_lo, exec_lo, s17
	s_cbranch_execz .LBB54_27
.LBB54_11:                              ; =>This Loop Header: Depth=1
                                        ;     Child Loop BB54_15 Depth 2
                                        ;       Child Loop BB54_18 Depth 3
	v_mov_b32_e32 v15, 0
	s_and_not1_b32 vcc_lo, exec_lo, s13
	s_wait_alu 0xfffe
	s_cbranch_vccnz .LBB54_22
; %bb.12:                               ;   in Loop: Header=BB54_11 Depth=1
	v_ashrrev_i32_e32 v5, 31, v0
	v_add_co_u32 v16, vcc_lo, s22, v0
	v_mov_b32_e32 v15, 0
	s_mov_b32 s24, s4
	s_wait_alu 0xfffd
	v_add_co_ci_u32_e64 v17, null, s23, v5, vcc_lo
	s_branch .LBB54_15
.LBB54_13:                              ;   in Loop: Header=BB54_15 Depth=2
	s_or_b32 exec_lo, exec_lo, s25
.LBB54_14:                              ;   in Loop: Header=BB54_15 Depth=2
	s_wait_alu 0xfffe
	s_or_b32 exec_lo, exec_lo, s28
	v_add_co_u32 v16, vcc_lo, v16, s20
	s_wait_alu 0xfffd
	v_add_co_ci_u32_e64 v17, null, s21, v17, vcc_lo
	s_add_co_i32 s24, s24, 1
	s_wait_alu 0xfffe
	s_cmp_ge_i32 s24, s3
	s_cbranch_scc1 .LBB54_22
.LBB54_15:                              ;   Parent Loop BB54_11 Depth=1
                                        ; =>  This Loop Header: Depth=2
                                        ;       Child Loop BB54_18 Depth 3
	s_and_saveexec_b32 s28, s0
	s_cbranch_execz .LBB54_14
; %bb.16:                               ;   in Loop: Header=BB54_15 Depth=2
	s_wait_alu 0xfffe
	s_ashr_i32 s25, s24, 31
	s_wait_dscnt 0x0
	v_mad_co_u64_u32 v[5:6], null, s20, s24, v[1:2]
	s_wait_alu 0xfffe
	s_lshl_b64 s[30:31], s[24:25], 2
	s_mul_i32 s25, s20, s25
	s_wait_alu 0xfffe
	s_add_nc_u64 s[30:31], s[8:9], s[30:31]
	v_mov_b32_e32 v8, v4
	s_load_b32 s29, s[30:31], 0x0
	s_mul_i32 s30, s21, s24
	v_dual_mov_b32 v18, v11 :: v_dual_mov_b32 v7, v3
	s_wait_alu 0xfffe
	v_add3_u32 v6, s25, s30, v6
	s_wait_kmcnt 0x0
	s_sub_co_i32 s25, s29, s2
	s_wait_alu 0xfffe
	s_mul_i32 s29, s25, s16
	s_mov_b32 s25, 0
	s_branch .LBB54_18
.LBB54_17:                              ;   in Loop: Header=BB54_18 Depth=3
	v_add_nc_u32_e32 v19, s29, v7
	s_delay_alu instid0(VALU_DEP_2) | instskip(SKIP_1) | instid1(VALU_DEP_3)
	v_lshlrev_b64_e32 v[9:10], 1, v[9:10]
	v_add_nc_u32_e32 v18, s5, v18
	v_ashrrev_i32_e32 v20, 31, v19
	s_delay_alu instid0(VALU_DEP_3) | instskip(SKIP_1) | instid1(VALU_DEP_4)
	v_add_co_u32 v9, vcc_lo, s10, v9
	s_wait_alu 0xfffd
	v_add_co_ci_u32_e64 v10, null, s11, v10, vcc_lo
	s_delay_alu instid0(VALU_DEP_3) | instskip(NEXT) | instid1(VALU_DEP_1)
	v_lshlrev_b64_e32 v[19:20], 1, v[19:20]
	v_add_co_u32 v19, vcc_lo, s18, v19
	s_wait_alu 0xfffd
	s_delay_alu instid0(VALU_DEP_2)
	v_add_co_ci_u32_e64 v20, null, s19, v20, vcc_lo
	v_add_co_u32 v7, vcc_lo, v7, 8
	global_load_u16 v9, v[9:10], off
	global_load_u16 v10, v[19:20], off
	s_wait_alu 0xfffd
	v_add_co_ci_u32_e64 v8, null, 0, v8, vcc_lo
	v_cmp_le_i32_e32 vcc_lo, s16, v7
	s_or_b32 s25, vcc_lo, s25
	s_wait_loadcnt 0x0
	v_fma_mix_f32 v15, v9, v10, v15 op_sel_hi:[1,1,0]
	s_wait_alu 0xfffe
	s_and_not1_b32 exec_lo, exec_lo, s25
	s_cbranch_execz .LBB54_13
.LBB54_18:                              ;   Parent Loop BB54_11 Depth=1
                                        ;     Parent Loop BB54_15 Depth=2
                                        ; =>    This Inner Loop Header: Depth=3
	s_and_b32 vcc_lo, exec_lo, s15
	s_wait_alu 0xfffe
	s_cbranch_vccz .LBB54_20
; %bb.19:                               ;   in Loop: Header=BB54_18 Depth=3
	v_ashrrev_i32_e32 v10, 31, v18
	v_add_co_u32 v9, vcc_lo, v5, v18
	s_wait_alu 0xfffd
	s_delay_alu instid0(VALU_DEP_2)
	v_add_co_ci_u32_e64 v10, null, v6, v10, vcc_lo
	s_cbranch_execnz .LBB54_17
	s_branch .LBB54_21
.LBB54_20:                              ;   in Loop: Header=BB54_18 Depth=3
                                        ; implicit-def: $vgpr9_vgpr10
.LBB54_21:                              ;   in Loop: Header=BB54_18 Depth=3
	v_add_co_u32 v9, vcc_lo, v16, v7
	s_wait_alu 0xfffd
	v_add_co_ci_u32_e64 v10, null, v17, v8, vcc_lo
	s_branch .LBB54_17
.LBB54_22:                              ;   in Loop: Header=BB54_11 Depth=1
	ds_bpermute_b32 v5, v12, v15
	s_wait_dscnt 0x0
	v_add_f32_e32 v5, v15, v5
	ds_bpermute_b32 v6, v13, v5
	s_wait_dscnt 0x0
	v_add_f32_e32 v5, v5, v6
	ds_bpermute_b32 v6, v14, v5
	s_and_saveexec_b32 s24, s1
	s_cbranch_execz .LBB54_10
; %bb.23:                               ;   in Loop: Header=BB54_11 Depth=1
	s_wait_dscnt 0x0
	v_dual_add_f32 v6, v5, v6 :: v_dual_add_nc_u32 v5, s27, v1
	s_and_b32 vcc_lo, exec_lo, s26
	s_delay_alu instid0(VALU_DEP_1) | instskip(NEXT) | instid1(VALU_DEP_2)
	v_mul_f32_e32 v7, s12, v6
	v_ashrrev_i32_e32 v6, 31, v5
	s_wait_alu 0xfffe
	s_cbranch_vccz .LBB54_25
; %bb.24:                               ;   in Loop: Header=BB54_11 Depth=1
	s_delay_alu instid0(VALU_DEP_1) | instskip(NEXT) | instid1(VALU_DEP_1)
	v_lshlrev_b64_e32 v[8:9], 2, v[5:6]
	v_add_co_u32 v8, vcc_lo, s6, v8
	s_wait_alu 0xfffd
	s_delay_alu instid0(VALU_DEP_2)
	v_add_co_ci_u32_e64 v9, null, s7, v9, vcc_lo
	global_store_b32 v[8:9], v7, off
	s_cbranch_execnz .LBB54_10
	s_branch .LBB54_26
.LBB54_25:                              ;   in Loop: Header=BB54_11 Depth=1
.LBB54_26:                              ;   in Loop: Header=BB54_11 Depth=1
	s_delay_alu instid0(VALU_DEP_1) | instskip(NEXT) | instid1(VALU_DEP_1)
	v_lshlrev_b64_e32 v[5:6], 2, v[5:6]
	v_add_co_u32 v5, vcc_lo, s6, v5
	s_wait_alu 0xfffd
	s_delay_alu instid0(VALU_DEP_2)
	v_add_co_ci_u32_e64 v6, null, s7, v6, vcc_lo
	global_load_b32 v8, v[5:6], off
	s_wait_loadcnt 0x0
	v_fmac_f32_e32 v7, s14, v8
	global_store_b32 v[5:6], v7, off
	s_branch .LBB54_10
.LBB54_27:
	s_endpgm
	.section	.rodata,"a",@progbits
	.p2align	6, 0x0
	.amdhsa_kernel _ZN9rocsparseL22bsrxmvn_general_kernelILj64ELj8EfiiDF16_DF16_fEEv20rocsparse_direction_NS_24const_host_device_scalarIT1_EET3_PKS5_PKT2_SA_S7_PKT4_S5_PKT5_S4_PT6_21rocsparse_index_base_b
		.amdhsa_group_segment_fixed_size 0
		.amdhsa_private_segment_fixed_size 0
		.amdhsa_kernarg_size 104
		.amdhsa_user_sgpr_count 2
		.amdhsa_user_sgpr_dispatch_ptr 0
		.amdhsa_user_sgpr_queue_ptr 0
		.amdhsa_user_sgpr_kernarg_segment_ptr 1
		.amdhsa_user_sgpr_dispatch_id 0
		.amdhsa_user_sgpr_private_segment_size 0
		.amdhsa_wavefront_size32 1
		.amdhsa_uses_dynamic_stack 0
		.amdhsa_enable_private_segment 0
		.amdhsa_system_sgpr_workgroup_id_x 1
		.amdhsa_system_sgpr_workgroup_id_y 0
		.amdhsa_system_sgpr_workgroup_id_z 0
		.amdhsa_system_sgpr_workgroup_info 0
		.amdhsa_system_vgpr_workitem_id 0
		.amdhsa_next_free_vgpr 21
		.amdhsa_next_free_sgpr 32
		.amdhsa_reserve_vcc 1
		.amdhsa_float_round_mode_32 0
		.amdhsa_float_round_mode_16_64 0
		.amdhsa_float_denorm_mode_32 3
		.amdhsa_float_denorm_mode_16_64 3
		.amdhsa_fp16_overflow 0
		.amdhsa_workgroup_processor_mode 1
		.amdhsa_memory_ordered 1
		.amdhsa_forward_progress 1
		.amdhsa_inst_pref_size 10
		.amdhsa_round_robin_scheduling 0
		.amdhsa_exception_fp_ieee_invalid_op 0
		.amdhsa_exception_fp_denorm_src 0
		.amdhsa_exception_fp_ieee_div_zero 0
		.amdhsa_exception_fp_ieee_overflow 0
		.amdhsa_exception_fp_ieee_underflow 0
		.amdhsa_exception_fp_ieee_inexact 0
		.amdhsa_exception_int_div_zero 0
	.end_amdhsa_kernel
	.section	.text._ZN9rocsparseL22bsrxmvn_general_kernelILj64ELj8EfiiDF16_DF16_fEEv20rocsparse_direction_NS_24const_host_device_scalarIT1_EET3_PKS5_PKT2_SA_S7_PKT4_S5_PKT5_S4_PT6_21rocsparse_index_base_b,"axG",@progbits,_ZN9rocsparseL22bsrxmvn_general_kernelILj64ELj8EfiiDF16_DF16_fEEv20rocsparse_direction_NS_24const_host_device_scalarIT1_EET3_PKS5_PKT2_SA_S7_PKT4_S5_PKT5_S4_PT6_21rocsparse_index_base_b,comdat
.Lfunc_end54:
	.size	_ZN9rocsparseL22bsrxmvn_general_kernelILj64ELj8EfiiDF16_DF16_fEEv20rocsparse_direction_NS_24const_host_device_scalarIT1_EET3_PKS5_PKT2_SA_S7_PKT4_S5_PKT5_S4_PT6_21rocsparse_index_base_b, .Lfunc_end54-_ZN9rocsparseL22bsrxmvn_general_kernelILj64ELj8EfiiDF16_DF16_fEEv20rocsparse_direction_NS_24const_host_device_scalarIT1_EET3_PKS5_PKT2_SA_S7_PKT4_S5_PKT5_S4_PT6_21rocsparse_index_base_b
                                        ; -- End function
	.set _ZN9rocsparseL22bsrxmvn_general_kernelILj64ELj8EfiiDF16_DF16_fEEv20rocsparse_direction_NS_24const_host_device_scalarIT1_EET3_PKS5_PKT2_SA_S7_PKT4_S5_PKT5_S4_PT6_21rocsparse_index_base_b.num_vgpr, 21
	.set _ZN9rocsparseL22bsrxmvn_general_kernelILj64ELj8EfiiDF16_DF16_fEEv20rocsparse_direction_NS_24const_host_device_scalarIT1_EET3_PKS5_PKT2_SA_S7_PKT4_S5_PKT5_S4_PT6_21rocsparse_index_base_b.num_agpr, 0
	.set _ZN9rocsparseL22bsrxmvn_general_kernelILj64ELj8EfiiDF16_DF16_fEEv20rocsparse_direction_NS_24const_host_device_scalarIT1_EET3_PKS5_PKT2_SA_S7_PKT4_S5_PKT5_S4_PT6_21rocsparse_index_base_b.numbered_sgpr, 32
	.set _ZN9rocsparseL22bsrxmvn_general_kernelILj64ELj8EfiiDF16_DF16_fEEv20rocsparse_direction_NS_24const_host_device_scalarIT1_EET3_PKS5_PKT2_SA_S7_PKT4_S5_PKT5_S4_PT6_21rocsparse_index_base_b.num_named_barrier, 0
	.set _ZN9rocsparseL22bsrxmvn_general_kernelILj64ELj8EfiiDF16_DF16_fEEv20rocsparse_direction_NS_24const_host_device_scalarIT1_EET3_PKS5_PKT2_SA_S7_PKT4_S5_PKT5_S4_PT6_21rocsparse_index_base_b.private_seg_size, 0
	.set _ZN9rocsparseL22bsrxmvn_general_kernelILj64ELj8EfiiDF16_DF16_fEEv20rocsparse_direction_NS_24const_host_device_scalarIT1_EET3_PKS5_PKT2_SA_S7_PKT4_S5_PKT5_S4_PT6_21rocsparse_index_base_b.uses_vcc, 1
	.set _ZN9rocsparseL22bsrxmvn_general_kernelILj64ELj8EfiiDF16_DF16_fEEv20rocsparse_direction_NS_24const_host_device_scalarIT1_EET3_PKS5_PKT2_SA_S7_PKT4_S5_PKT5_S4_PT6_21rocsparse_index_base_b.uses_flat_scratch, 0
	.set _ZN9rocsparseL22bsrxmvn_general_kernelILj64ELj8EfiiDF16_DF16_fEEv20rocsparse_direction_NS_24const_host_device_scalarIT1_EET3_PKS5_PKT2_SA_S7_PKT4_S5_PKT5_S4_PT6_21rocsparse_index_base_b.has_dyn_sized_stack, 0
	.set _ZN9rocsparseL22bsrxmvn_general_kernelILj64ELj8EfiiDF16_DF16_fEEv20rocsparse_direction_NS_24const_host_device_scalarIT1_EET3_PKS5_PKT2_SA_S7_PKT4_S5_PKT5_S4_PT6_21rocsparse_index_base_b.has_recursion, 0
	.set _ZN9rocsparseL22bsrxmvn_general_kernelILj64ELj8EfiiDF16_DF16_fEEv20rocsparse_direction_NS_24const_host_device_scalarIT1_EET3_PKS5_PKT2_SA_S7_PKT4_S5_PKT5_S4_PT6_21rocsparse_index_base_b.has_indirect_call, 0
	.section	.AMDGPU.csdata,"",@progbits
; Kernel info:
; codeLenInByte = 1168
; TotalNumSgprs: 34
; NumVgprs: 21
; ScratchSize: 0
; MemoryBound: 0
; FloatMode: 240
; IeeeMode: 1
; LDSByteSize: 0 bytes/workgroup (compile time only)
; SGPRBlocks: 0
; VGPRBlocks: 2
; NumSGPRsForWavesPerEU: 34
; NumVGPRsForWavesPerEU: 21
; Occupancy: 16
; WaveLimiterHint : 1
; COMPUTE_PGM_RSRC2:SCRATCH_EN: 0
; COMPUTE_PGM_RSRC2:USER_SGPR: 2
; COMPUTE_PGM_RSRC2:TRAP_HANDLER: 0
; COMPUTE_PGM_RSRC2:TGID_X_EN: 1
; COMPUTE_PGM_RSRC2:TGID_Y_EN: 0
; COMPUTE_PGM_RSRC2:TGID_Z_EN: 0
; COMPUTE_PGM_RSRC2:TIDIG_COMP_CNT: 0
	.section	.text._ZN9rocsparseL22bsrxmvn_general_kernelILj256ELj16EfiiDF16_DF16_fEEv20rocsparse_direction_NS_24const_host_device_scalarIT1_EET3_PKS5_PKT2_SA_S7_PKT4_S5_PKT5_S4_PT6_21rocsparse_index_base_b,"axG",@progbits,_ZN9rocsparseL22bsrxmvn_general_kernelILj256ELj16EfiiDF16_DF16_fEEv20rocsparse_direction_NS_24const_host_device_scalarIT1_EET3_PKS5_PKT2_SA_S7_PKT4_S5_PKT5_S4_PT6_21rocsparse_index_base_b,comdat
	.globl	_ZN9rocsparseL22bsrxmvn_general_kernelILj256ELj16EfiiDF16_DF16_fEEv20rocsparse_direction_NS_24const_host_device_scalarIT1_EET3_PKS5_PKT2_SA_S7_PKT4_S5_PKT5_S4_PT6_21rocsparse_index_base_b ; -- Begin function _ZN9rocsparseL22bsrxmvn_general_kernelILj256ELj16EfiiDF16_DF16_fEEv20rocsparse_direction_NS_24const_host_device_scalarIT1_EET3_PKS5_PKT2_SA_S7_PKT4_S5_PKT5_S4_PT6_21rocsparse_index_base_b
	.p2align	8
	.type	_ZN9rocsparseL22bsrxmvn_general_kernelILj256ELj16EfiiDF16_DF16_fEEv20rocsparse_direction_NS_24const_host_device_scalarIT1_EET3_PKS5_PKT2_SA_S7_PKT4_S5_PKT5_S4_PT6_21rocsparse_index_base_b,@function
_ZN9rocsparseL22bsrxmvn_general_kernelILj256ELj16EfiiDF16_DF16_fEEv20rocsparse_direction_NS_24const_host_device_scalarIT1_EET3_PKS5_PKT2_SA_S7_PKT4_S5_PKT5_S4_PT6_21rocsparse_index_base_b: ; @_ZN9rocsparseL22bsrxmvn_general_kernelILj256ELj16EfiiDF16_DF16_fEEv20rocsparse_direction_NS_24const_host_device_scalarIT1_EET3_PKS5_PKT2_SA_S7_PKT4_S5_PKT5_S4_PT6_21rocsparse_index_base_b
; %bb.0:
	s_clause 0x2
	s_load_b64 s[2:3], s[0:1], 0x60
	s_load_b64 s[12:13], s[0:1], 0x8
	s_load_b64 s[14:15], s[0:1], 0x50
	s_wait_kmcnt 0x0
	s_bitcmp1_b32 s3, 0
	s_cselect_b32 s3, -1, 0
	s_delay_alu instid0(SALU_CYCLE_1)
	s_and_b32 vcc_lo, exec_lo, s3
	s_xor_b32 s3, s3, -1
	s_cbranch_vccnz .LBB55_2
; %bb.1:
	s_load_b32 s12, s[12:13], 0x0
.LBB55_2:
	s_and_not1_b32 vcc_lo, exec_lo, s3
	s_cbranch_vccnz .LBB55_4
; %bb.3:
	s_load_b32 s14, s[14:15], 0x0
.LBB55_4:
	s_wait_kmcnt 0x0
	s_cmp_neq_f32 s12, 0
	s_cselect_b32 s3, -1, 0
	s_cmp_neq_f32 s14, 1.0
	s_cselect_b32 s4, -1, 0
	s_delay_alu instid0(SALU_CYCLE_1) | instskip(NEXT) | instid1(SALU_CYCLE_1)
	s_or_b32 s3, s3, s4
	s_and_not1_b32 vcc_lo, exec_lo, s3
	s_cbranch_vccnz .LBB55_27
; %bb.5:
	s_load_b64 s[4:5], s[0:1], 0x18
	s_wait_kmcnt 0x0
	s_cmp_eq_u64 s[4:5], 0
	s_cbranch_scc1 .LBB55_7
; %bb.6:
	s_mov_b32 s6, ttmp9
	s_ashr_i32 s7, ttmp9, 31
	s_delay_alu instid0(SALU_CYCLE_1) | instskip(NEXT) | instid1(SALU_CYCLE_1)
	s_lshl_b64 s[6:7], s[6:7], 2
	s_add_nc_u64 s[4:5], s[4:5], s[6:7]
	s_load_b32 s3, s[4:5], 0x0
	s_wait_kmcnt 0x0
	s_sub_co_i32 s22, s3, s2
	s_branch .LBB55_8
.LBB55_7:
	s_mov_b32 s22, ttmp9
.LBB55_8:
	s_load_b32 s16, s[0:1], 0x40
	v_lshrrev_b32_e32 v1, 4, v0
	s_mov_b32 s3, exec_lo
	s_wait_kmcnt 0x0
	s_delay_alu instid0(VALU_DEP_1)
	v_cmpx_gt_i32_e64 s16, v1
	s_cbranch_execz .LBB55_27
; %bb.9:
	s_load_b256 s[4:11], s[0:1], 0x20
	s_ashr_i32 s23, s22, 31
	v_mbcnt_lo_u32_b32 v5, -1, 0
	s_lshl_b64 s[20:21], s[22:23], 2
	s_load_b32 s15, s[0:1], 0x0
	v_dual_mov_b32 v2, 0 :: v_dual_and_b32 v3, 15, v0
	s_delay_alu instid0(VALU_DEP_2)
	v_xor_b32_e32 v6, 8, v5
	v_xor_b32_e32 v7, 4, v5
	;; [unrolled: 1-line block ×4, first 2 shown]
	v_mul_lo_u32 v0, s16, v1
	v_cmp_gt_i32_e32 vcc_lo, 32, v6
	v_mul_lo_u32 v11, s16, v3
	s_mov_b32 s17, 0
	s_mul_i32 s27, s22, s16
	v_cndmask_b32_e32 v6, v5, v6, vcc_lo
	v_cmp_gt_i32_e32 vcc_lo, 32, v7
	v_mov_b32_e32 v4, v2
	s_wait_kmcnt 0x0
	s_add_nc_u64 s[24:25], s[4:5], s[20:21]
	s_load_b32 s13, s[24:25], 0x0
	s_clause 0x1
	s_load_b64 s[4:5], s[0:1], 0x58
	s_load_b64 s[18:19], s[0:1], 0x48
	s_add_nc_u64 s[0:1], s[6:7], s[20:21]
	s_add_nc_u64 s[24:25], s[24:25], 4
	v_cndmask_b32_e32 v7, v5, v7, vcc_lo
	v_cmp_gt_i32_e32 vcc_lo, 32, v8
	s_wait_alu 0xfffd
	s_delay_alu instid0(VALU_DEP_2)
	v_dual_cndmask_b32 v8, v5, v8 :: v_dual_lshlrev_b32 v13, 2, v7
	v_cmp_gt_i32_e32 vcc_lo, 32, v9
	s_wait_alu 0xfffd
	v_dual_cndmask_b32 v5, v5, v9 :: v_dual_lshlrev_b32 v12, 2, v6
	s_wait_kmcnt 0x0
	s_sub_co_i32 s20, s13, s2
	s_cmp_eq_u64 s[6:7], 0
	s_delay_alu instid0(VALU_DEP_1)
	v_lshlrev_b32_e32 v15, 2, v5
	s_cselect_b32 s1, s25, s1
	s_cselect_b32 s0, s24, s0
	v_lshlrev_b32_e32 v14, 2, v8
	s_load_b32 s21, s[0:1], 0x0
	v_cmp_gt_u32_e64 s0, s16, v3
	v_cmp_eq_u32_e64 s1, 15, v3
	s_mul_u64 s[6:7], s[16:17], s[16:17]
	s_wait_kmcnt 0x0
	s_sub_co_i32 s3, s21, s2
	s_cmp_lt_i32 s13, s21
	s_cselect_b32 s13, -1, 0
	s_cmp_lg_u32 s15, 0
	s_cselect_b32 s15, -1, 0
	s_cmp_eq_f32 s14, 0
	s_cselect_b32 s26, -1, 0
	s_ashr_i32 s21, s20, 31
	s_delay_alu instid0(SALU_CYCLE_1)
	s_mul_u64 s[22:23], s[20:21], s[6:7]
	s_lshl_b32 s21, s16, 4
	s_branch .LBB55_11
.LBB55_10:                              ;   in Loop: Header=BB55_11 Depth=1
	s_wait_alu 0xfffe
	s_or_b32 exec_lo, exec_lo, s24
	v_add_nc_u32_e32 v1, 16, v1
	v_add_nc_u32_e32 v0, s21, v0
	s_delay_alu instid0(VALU_DEP_2)
	v_cmp_le_i32_e32 vcc_lo, s16, v1
	s_or_b32 s17, vcc_lo, s17
	s_wait_alu 0xfffe
	s_and_not1_b32 exec_lo, exec_lo, s17
	s_cbranch_execz .LBB55_27
.LBB55_11:                              ; =>This Loop Header: Depth=1
                                        ;     Child Loop BB55_15 Depth 2
                                        ;       Child Loop BB55_18 Depth 3
	v_mov_b32_e32 v16, 0
	s_and_not1_b32 vcc_lo, exec_lo, s13
	s_wait_alu 0xfffe
	s_cbranch_vccnz .LBB55_22
; %bb.12:                               ;   in Loop: Header=BB55_11 Depth=1
	v_ashrrev_i32_e32 v5, 31, v0
	v_add_co_u32 v17, vcc_lo, s22, v0
	v_mov_b32_e32 v16, 0
	s_mov_b32 s24, s20
	s_wait_alu 0xfffd
	v_add_co_ci_u32_e64 v18, null, s23, v5, vcc_lo
	s_branch .LBB55_15
.LBB55_13:                              ;   in Loop: Header=BB55_15 Depth=2
	s_or_b32 exec_lo, exec_lo, s25
.LBB55_14:                              ;   in Loop: Header=BB55_15 Depth=2
	s_wait_alu 0xfffe
	s_or_b32 exec_lo, exec_lo, s28
	v_add_co_u32 v17, vcc_lo, v17, s6
	s_wait_alu 0xfffd
	v_add_co_ci_u32_e64 v18, null, s7, v18, vcc_lo
	s_add_co_i32 s24, s24, 1
	s_wait_alu 0xfffe
	s_cmp_ge_i32 s24, s3
	s_cbranch_scc1 .LBB55_22
.LBB55_15:                              ;   Parent Loop BB55_11 Depth=1
                                        ; =>  This Loop Header: Depth=2
                                        ;       Child Loop BB55_18 Depth 3
	s_and_saveexec_b32 s28, s0
	s_cbranch_execz .LBB55_14
; %bb.16:                               ;   in Loop: Header=BB55_15 Depth=2
	s_wait_alu 0xfffe
	s_ashr_i32 s25, s24, 31
	s_wait_dscnt 0x0
	v_mad_co_u64_u32 v[5:6], null, s6, s24, v[1:2]
	s_wait_alu 0xfffe
	s_lshl_b64 s[30:31], s[24:25], 2
	s_mul_i32 s25, s6, s25
	s_wait_alu 0xfffe
	s_add_nc_u64 s[30:31], s[8:9], s[30:31]
	v_dual_mov_b32 v19, v11 :: v_dual_mov_b32 v8, v4
	s_load_b32 s29, s[30:31], 0x0
	s_mul_i32 s30, s7, s24
	v_mov_b32_e32 v7, v3
	s_wait_alu 0xfffe
	v_add3_u32 v6, s25, s30, v6
	s_wait_kmcnt 0x0
	s_sub_co_i32 s25, s29, s2
	s_wait_alu 0xfffe
	s_mul_i32 s29, s25, s16
	s_mov_b32 s25, 0
	s_branch .LBB55_18
.LBB55_17:                              ;   in Loop: Header=BB55_18 Depth=3
	v_add_nc_u32_e32 v20, s29, v7
	s_delay_alu instid0(VALU_DEP_2) | instskip(SKIP_1) | instid1(VALU_DEP_3)
	v_lshlrev_b64_e32 v[9:10], 1, v[9:10]
	v_add_nc_u32_e32 v19, s21, v19
	v_ashrrev_i32_e32 v21, 31, v20
	s_delay_alu instid0(VALU_DEP_3) | instskip(SKIP_1) | instid1(VALU_DEP_4)
	v_add_co_u32 v9, vcc_lo, s10, v9
	s_wait_alu 0xfffd
	v_add_co_ci_u32_e64 v10, null, s11, v10, vcc_lo
	s_delay_alu instid0(VALU_DEP_3) | instskip(NEXT) | instid1(VALU_DEP_1)
	v_lshlrev_b64_e32 v[20:21], 1, v[20:21]
	v_add_co_u32 v20, vcc_lo, s18, v20
	s_wait_alu 0xfffd
	s_delay_alu instid0(VALU_DEP_2)
	v_add_co_ci_u32_e64 v21, null, s19, v21, vcc_lo
	v_add_co_u32 v7, vcc_lo, v7, 16
	global_load_u16 v9, v[9:10], off
	global_load_u16 v10, v[20:21], off
	s_wait_alu 0xfffd
	v_add_co_ci_u32_e64 v8, null, 0, v8, vcc_lo
	v_cmp_le_i32_e32 vcc_lo, s16, v7
	s_or_b32 s25, vcc_lo, s25
	s_wait_loadcnt 0x0
	v_fma_mix_f32 v16, v9, v10, v16 op_sel_hi:[1,1,0]
	s_wait_alu 0xfffe
	s_and_not1_b32 exec_lo, exec_lo, s25
	s_cbranch_execz .LBB55_13
.LBB55_18:                              ;   Parent Loop BB55_11 Depth=1
                                        ;     Parent Loop BB55_15 Depth=2
                                        ; =>    This Inner Loop Header: Depth=3
	s_and_b32 vcc_lo, exec_lo, s15
	s_wait_alu 0xfffe
	s_cbranch_vccz .LBB55_20
; %bb.19:                               ;   in Loop: Header=BB55_18 Depth=3
	v_ashrrev_i32_e32 v10, 31, v19
	v_add_co_u32 v9, vcc_lo, v5, v19
	s_wait_alu 0xfffd
	s_delay_alu instid0(VALU_DEP_2)
	v_add_co_ci_u32_e64 v10, null, v6, v10, vcc_lo
	s_cbranch_execnz .LBB55_17
	s_branch .LBB55_21
.LBB55_20:                              ;   in Loop: Header=BB55_18 Depth=3
                                        ; implicit-def: $vgpr9_vgpr10
.LBB55_21:                              ;   in Loop: Header=BB55_18 Depth=3
	v_add_co_u32 v9, vcc_lo, v17, v7
	s_wait_alu 0xfffd
	v_add_co_ci_u32_e64 v10, null, v18, v8, vcc_lo
	s_branch .LBB55_17
.LBB55_22:                              ;   in Loop: Header=BB55_11 Depth=1
	ds_bpermute_b32 v5, v12, v16
	s_wait_dscnt 0x0
	v_add_f32_e32 v5, v16, v5
	ds_bpermute_b32 v6, v13, v5
	s_wait_dscnt 0x0
	v_add_f32_e32 v5, v5, v6
	;; [unrolled: 3-line block ×3, first 2 shown]
	ds_bpermute_b32 v6, v15, v5
	s_and_saveexec_b32 s24, s1
	s_cbranch_execz .LBB55_10
; %bb.23:                               ;   in Loop: Header=BB55_11 Depth=1
	s_wait_dscnt 0x0
	v_dual_add_f32 v6, v5, v6 :: v_dual_add_nc_u32 v5, s27, v1
	s_and_b32 vcc_lo, exec_lo, s26
	s_delay_alu instid0(VALU_DEP_1) | instskip(NEXT) | instid1(VALU_DEP_2)
	v_mul_f32_e32 v7, s12, v6
	v_ashrrev_i32_e32 v6, 31, v5
	s_wait_alu 0xfffe
	s_cbranch_vccz .LBB55_25
; %bb.24:                               ;   in Loop: Header=BB55_11 Depth=1
	s_delay_alu instid0(VALU_DEP_1) | instskip(NEXT) | instid1(VALU_DEP_1)
	v_lshlrev_b64_e32 v[8:9], 2, v[5:6]
	v_add_co_u32 v8, vcc_lo, s4, v8
	s_wait_alu 0xfffd
	s_delay_alu instid0(VALU_DEP_2)
	v_add_co_ci_u32_e64 v9, null, s5, v9, vcc_lo
	global_store_b32 v[8:9], v7, off
	s_cbranch_execnz .LBB55_10
	s_branch .LBB55_26
.LBB55_25:                              ;   in Loop: Header=BB55_11 Depth=1
.LBB55_26:                              ;   in Loop: Header=BB55_11 Depth=1
	s_delay_alu instid0(VALU_DEP_1) | instskip(NEXT) | instid1(VALU_DEP_1)
	v_lshlrev_b64_e32 v[5:6], 2, v[5:6]
	v_add_co_u32 v5, vcc_lo, s4, v5
	s_wait_alu 0xfffd
	s_delay_alu instid0(VALU_DEP_2)
	v_add_co_ci_u32_e64 v6, null, s5, v6, vcc_lo
	global_load_b32 v8, v[5:6], off
	s_wait_loadcnt 0x0
	v_fmac_f32_e32 v7, s14, v8
	global_store_b32 v[5:6], v7, off
	s_branch .LBB55_10
.LBB55_27:
	s_endpgm
	.section	.rodata,"a",@progbits
	.p2align	6, 0x0
	.amdhsa_kernel _ZN9rocsparseL22bsrxmvn_general_kernelILj256ELj16EfiiDF16_DF16_fEEv20rocsparse_direction_NS_24const_host_device_scalarIT1_EET3_PKS5_PKT2_SA_S7_PKT4_S5_PKT5_S4_PT6_21rocsparse_index_base_b
		.amdhsa_group_segment_fixed_size 0
		.amdhsa_private_segment_fixed_size 0
		.amdhsa_kernarg_size 104
		.amdhsa_user_sgpr_count 2
		.amdhsa_user_sgpr_dispatch_ptr 0
		.amdhsa_user_sgpr_queue_ptr 0
		.amdhsa_user_sgpr_kernarg_segment_ptr 1
		.amdhsa_user_sgpr_dispatch_id 0
		.amdhsa_user_sgpr_private_segment_size 0
		.amdhsa_wavefront_size32 1
		.amdhsa_uses_dynamic_stack 0
		.amdhsa_enable_private_segment 0
		.amdhsa_system_sgpr_workgroup_id_x 1
		.amdhsa_system_sgpr_workgroup_id_y 0
		.amdhsa_system_sgpr_workgroup_id_z 0
		.amdhsa_system_sgpr_workgroup_info 0
		.amdhsa_system_vgpr_workitem_id 0
		.amdhsa_next_free_vgpr 22
		.amdhsa_next_free_sgpr 32
		.amdhsa_reserve_vcc 1
		.amdhsa_float_round_mode_32 0
		.amdhsa_float_round_mode_16_64 0
		.amdhsa_float_denorm_mode_32 3
		.amdhsa_float_denorm_mode_16_64 3
		.amdhsa_fp16_overflow 0
		.amdhsa_workgroup_processor_mode 1
		.amdhsa_memory_ordered 1
		.amdhsa_forward_progress 1
		.amdhsa_inst_pref_size 10
		.amdhsa_round_robin_scheduling 0
		.amdhsa_exception_fp_ieee_invalid_op 0
		.amdhsa_exception_fp_denorm_src 0
		.amdhsa_exception_fp_ieee_div_zero 0
		.amdhsa_exception_fp_ieee_overflow 0
		.amdhsa_exception_fp_ieee_underflow 0
		.amdhsa_exception_fp_ieee_inexact 0
		.amdhsa_exception_int_div_zero 0
	.end_amdhsa_kernel
	.section	.text._ZN9rocsparseL22bsrxmvn_general_kernelILj256ELj16EfiiDF16_DF16_fEEv20rocsparse_direction_NS_24const_host_device_scalarIT1_EET3_PKS5_PKT2_SA_S7_PKT4_S5_PKT5_S4_PT6_21rocsparse_index_base_b,"axG",@progbits,_ZN9rocsparseL22bsrxmvn_general_kernelILj256ELj16EfiiDF16_DF16_fEEv20rocsparse_direction_NS_24const_host_device_scalarIT1_EET3_PKS5_PKT2_SA_S7_PKT4_S5_PKT5_S4_PT6_21rocsparse_index_base_b,comdat
.Lfunc_end55:
	.size	_ZN9rocsparseL22bsrxmvn_general_kernelILj256ELj16EfiiDF16_DF16_fEEv20rocsparse_direction_NS_24const_host_device_scalarIT1_EET3_PKS5_PKT2_SA_S7_PKT4_S5_PKT5_S4_PT6_21rocsparse_index_base_b, .Lfunc_end55-_ZN9rocsparseL22bsrxmvn_general_kernelILj256ELj16EfiiDF16_DF16_fEEv20rocsparse_direction_NS_24const_host_device_scalarIT1_EET3_PKS5_PKT2_SA_S7_PKT4_S5_PKT5_S4_PT6_21rocsparse_index_base_b
                                        ; -- End function
	.set _ZN9rocsparseL22bsrxmvn_general_kernelILj256ELj16EfiiDF16_DF16_fEEv20rocsparse_direction_NS_24const_host_device_scalarIT1_EET3_PKS5_PKT2_SA_S7_PKT4_S5_PKT5_S4_PT6_21rocsparse_index_base_b.num_vgpr, 22
	.set _ZN9rocsparseL22bsrxmvn_general_kernelILj256ELj16EfiiDF16_DF16_fEEv20rocsparse_direction_NS_24const_host_device_scalarIT1_EET3_PKS5_PKT2_SA_S7_PKT4_S5_PKT5_S4_PT6_21rocsparse_index_base_b.num_agpr, 0
	.set _ZN9rocsparseL22bsrxmvn_general_kernelILj256ELj16EfiiDF16_DF16_fEEv20rocsparse_direction_NS_24const_host_device_scalarIT1_EET3_PKS5_PKT2_SA_S7_PKT4_S5_PKT5_S4_PT6_21rocsparse_index_base_b.numbered_sgpr, 32
	.set _ZN9rocsparseL22bsrxmvn_general_kernelILj256ELj16EfiiDF16_DF16_fEEv20rocsparse_direction_NS_24const_host_device_scalarIT1_EET3_PKS5_PKT2_SA_S7_PKT4_S5_PKT5_S4_PT6_21rocsparse_index_base_b.num_named_barrier, 0
	.set _ZN9rocsparseL22bsrxmvn_general_kernelILj256ELj16EfiiDF16_DF16_fEEv20rocsparse_direction_NS_24const_host_device_scalarIT1_EET3_PKS5_PKT2_SA_S7_PKT4_S5_PKT5_S4_PT6_21rocsparse_index_base_b.private_seg_size, 0
	.set _ZN9rocsparseL22bsrxmvn_general_kernelILj256ELj16EfiiDF16_DF16_fEEv20rocsparse_direction_NS_24const_host_device_scalarIT1_EET3_PKS5_PKT2_SA_S7_PKT4_S5_PKT5_S4_PT6_21rocsparse_index_base_b.uses_vcc, 1
	.set _ZN9rocsparseL22bsrxmvn_general_kernelILj256ELj16EfiiDF16_DF16_fEEv20rocsparse_direction_NS_24const_host_device_scalarIT1_EET3_PKS5_PKT2_SA_S7_PKT4_S5_PKT5_S4_PT6_21rocsparse_index_base_b.uses_flat_scratch, 0
	.set _ZN9rocsparseL22bsrxmvn_general_kernelILj256ELj16EfiiDF16_DF16_fEEv20rocsparse_direction_NS_24const_host_device_scalarIT1_EET3_PKS5_PKT2_SA_S7_PKT4_S5_PKT5_S4_PT6_21rocsparse_index_base_b.has_dyn_sized_stack, 0
	.set _ZN9rocsparseL22bsrxmvn_general_kernelILj256ELj16EfiiDF16_DF16_fEEv20rocsparse_direction_NS_24const_host_device_scalarIT1_EET3_PKS5_PKT2_SA_S7_PKT4_S5_PKT5_S4_PT6_21rocsparse_index_base_b.has_recursion, 0
	.set _ZN9rocsparseL22bsrxmvn_general_kernelILj256ELj16EfiiDF16_DF16_fEEv20rocsparse_direction_NS_24const_host_device_scalarIT1_EET3_PKS5_PKT2_SA_S7_PKT4_S5_PKT5_S4_PT6_21rocsparse_index_base_b.has_indirect_call, 0
	.section	.AMDGPU.csdata,"",@progbits
; Kernel info:
; codeLenInByte = 1208
; TotalNumSgprs: 34
; NumVgprs: 22
; ScratchSize: 0
; MemoryBound: 0
; FloatMode: 240
; IeeeMode: 1
; LDSByteSize: 0 bytes/workgroup (compile time only)
; SGPRBlocks: 0
; VGPRBlocks: 2
; NumSGPRsForWavesPerEU: 34
; NumVGPRsForWavesPerEU: 22
; Occupancy: 16
; WaveLimiterHint : 1
; COMPUTE_PGM_RSRC2:SCRATCH_EN: 0
; COMPUTE_PGM_RSRC2:USER_SGPR: 2
; COMPUTE_PGM_RSRC2:TRAP_HANDLER: 0
; COMPUTE_PGM_RSRC2:TGID_X_EN: 1
; COMPUTE_PGM_RSRC2:TGID_Y_EN: 0
; COMPUTE_PGM_RSRC2:TGID_Z_EN: 0
; COMPUTE_PGM_RSRC2:TIDIG_COMP_CNT: 0
	.section	.text._ZN9rocsparseL22bsrxmvn_general_kernelILj1024ELj32EfiiDF16_DF16_fEEv20rocsparse_direction_NS_24const_host_device_scalarIT1_EET3_PKS5_PKT2_SA_S7_PKT4_S5_PKT5_S4_PT6_21rocsparse_index_base_b,"axG",@progbits,_ZN9rocsparseL22bsrxmvn_general_kernelILj1024ELj32EfiiDF16_DF16_fEEv20rocsparse_direction_NS_24const_host_device_scalarIT1_EET3_PKS5_PKT2_SA_S7_PKT4_S5_PKT5_S4_PT6_21rocsparse_index_base_b,comdat
	.globl	_ZN9rocsparseL22bsrxmvn_general_kernelILj1024ELj32EfiiDF16_DF16_fEEv20rocsparse_direction_NS_24const_host_device_scalarIT1_EET3_PKS5_PKT2_SA_S7_PKT4_S5_PKT5_S4_PT6_21rocsparse_index_base_b ; -- Begin function _ZN9rocsparseL22bsrxmvn_general_kernelILj1024ELj32EfiiDF16_DF16_fEEv20rocsparse_direction_NS_24const_host_device_scalarIT1_EET3_PKS5_PKT2_SA_S7_PKT4_S5_PKT5_S4_PT6_21rocsparse_index_base_b
	.p2align	8
	.type	_ZN9rocsparseL22bsrxmvn_general_kernelILj1024ELj32EfiiDF16_DF16_fEEv20rocsparse_direction_NS_24const_host_device_scalarIT1_EET3_PKS5_PKT2_SA_S7_PKT4_S5_PKT5_S4_PT6_21rocsparse_index_base_b,@function
_ZN9rocsparseL22bsrxmvn_general_kernelILj1024ELj32EfiiDF16_DF16_fEEv20rocsparse_direction_NS_24const_host_device_scalarIT1_EET3_PKS5_PKT2_SA_S7_PKT4_S5_PKT5_S4_PT6_21rocsparse_index_base_b: ; @_ZN9rocsparseL22bsrxmvn_general_kernelILj1024ELj32EfiiDF16_DF16_fEEv20rocsparse_direction_NS_24const_host_device_scalarIT1_EET3_PKS5_PKT2_SA_S7_PKT4_S5_PKT5_S4_PT6_21rocsparse_index_base_b
; %bb.0:
	s_clause 0x2
	s_load_b64 s[2:3], s[0:1], 0x60
	s_load_b64 s[12:13], s[0:1], 0x8
	;; [unrolled: 1-line block ×3, first 2 shown]
	s_wait_kmcnt 0x0
	s_bitcmp1_b32 s3, 0
	s_cselect_b32 s3, -1, 0
	s_delay_alu instid0(SALU_CYCLE_1)
	s_and_b32 vcc_lo, exec_lo, s3
	s_xor_b32 s3, s3, -1
	s_cbranch_vccnz .LBB56_2
; %bb.1:
	s_load_b32 s12, s[12:13], 0x0
.LBB56_2:
	s_and_not1_b32 vcc_lo, exec_lo, s3
	s_cbranch_vccnz .LBB56_4
; %bb.3:
	s_load_b32 s14, s[14:15], 0x0
.LBB56_4:
	s_wait_kmcnt 0x0
	s_cmp_neq_f32 s12, 0
	s_cselect_b32 s3, -1, 0
	s_cmp_neq_f32 s14, 1.0
	s_cselect_b32 s4, -1, 0
	s_delay_alu instid0(SALU_CYCLE_1) | instskip(NEXT) | instid1(SALU_CYCLE_1)
	s_or_b32 s3, s3, s4
	s_and_not1_b32 vcc_lo, exec_lo, s3
	s_cbranch_vccnz .LBB56_27
; %bb.5:
	s_load_b64 s[4:5], s[0:1], 0x18
	s_wait_kmcnt 0x0
	s_cmp_eq_u64 s[4:5], 0
	s_cbranch_scc1 .LBB56_7
; %bb.6:
	s_mov_b32 s6, ttmp9
	s_ashr_i32 s7, ttmp9, 31
	s_delay_alu instid0(SALU_CYCLE_1) | instskip(NEXT) | instid1(SALU_CYCLE_1)
	s_lshl_b64 s[6:7], s[6:7], 2
	s_add_nc_u64 s[4:5], s[4:5], s[6:7]
	s_load_b32 s3, s[4:5], 0x0
	s_wait_kmcnt 0x0
	s_sub_co_i32 s22, s3, s2
	s_branch .LBB56_8
.LBB56_7:
	s_mov_b32 s22, ttmp9
.LBB56_8:
	s_load_b32 s16, s[0:1], 0x40
	v_lshrrev_b32_e32 v1, 5, v0
	s_mov_b32 s3, exec_lo
	s_wait_kmcnt 0x0
	s_delay_alu instid0(VALU_DEP_1)
	v_cmpx_gt_i32_e64 s16, v1
	s_cbranch_execz .LBB56_27
; %bb.9:
	s_load_b256 s[4:11], s[0:1], 0x20
	s_ashr_i32 s23, s22, 31
	v_mbcnt_lo_u32_b32 v5, -1, 0
	s_lshl_b64 s[20:21], s[22:23], 2
	s_load_b32 s15, s[0:1], 0x0
	v_dual_mov_b32 v2, 0 :: v_dual_and_b32 v3, 31, v0
	s_delay_alu instid0(VALU_DEP_2)
	v_xor_b32_e32 v6, 16, v5
	v_xor_b32_e32 v7, 8, v5
	;; [unrolled: 1-line block ×5, first 2 shown]
	v_cmp_gt_i32_e32 vcc_lo, 32, v6
	v_mul_lo_u32 v0, s16, v1
	v_mul_lo_u32 v11, s16, v3
	s_mov_b32 s17, 0
	s_mul_i32 s27, s22, s16
	v_cndmask_b32_e32 v6, v5, v6, vcc_lo
	v_cmp_gt_i32_e32 vcc_lo, 32, v7
	v_mov_b32_e32 v4, v2
	s_wait_kmcnt 0x0
	s_add_nc_u64 s[24:25], s[4:5], s[20:21]
	s_load_b32 s13, s[24:25], 0x0
	s_clause 0x1
	s_load_b64 s[4:5], s[0:1], 0x58
	s_load_b64 s[18:19], s[0:1], 0x48
	s_add_nc_u64 s[0:1], s[6:7], s[20:21]
	s_add_nc_u64 s[24:25], s[24:25], 4
	v_cndmask_b32_e32 v7, v5, v7, vcc_lo
	v_cmp_gt_i32_e32 vcc_lo, 32, v8
	s_wait_alu 0xfffd
	s_delay_alu instid0(VALU_DEP_2)
	v_dual_cndmask_b32 v8, v5, v8 :: v_dual_lshlrev_b32 v13, 2, v7
	v_cmp_gt_i32_e32 vcc_lo, 32, v9
	s_wait_alu 0xfffd
	v_dual_cndmask_b32 v9, v5, v9 :: v_dual_lshlrev_b32 v12, 2, v6
	v_cmp_gt_i32_e32 vcc_lo, 32, v10
	s_wait_kmcnt 0x0
	s_sub_co_i32 s20, s13, s2
	s_cmp_eq_u64 s[6:7], 0
	v_lshlrev_b32_e32 v15, 2, v9
	s_cselect_b32 s25, s25, s1
	s_cselect_b32 s24, s24, s0
	s_wait_alu 0xfffd
	v_dual_cndmask_b32 v5, v5, v10 :: v_dual_lshlrev_b32 v14, 2, v8
	s_load_b32 s21, s[24:25], 0x0
	v_cmp_gt_u32_e64 s0, s16, v3
	v_cmp_eq_u32_e64 s1, 31, v3
	s_delay_alu instid0(VALU_DEP_3)
	v_lshlrev_b32_e32 v16, 2, v5
	s_mul_u64 s[6:7], s[16:17], s[16:17]
	s_wait_kmcnt 0x0
	s_sub_co_i32 s3, s21, s2
	s_cmp_lt_i32 s13, s21
	s_cselect_b32 s13, -1, 0
	s_cmp_lg_u32 s15, 0
	s_cselect_b32 s15, -1, 0
	s_cmp_eq_f32 s14, 0
	s_cselect_b32 s26, -1, 0
	s_ashr_i32 s21, s20, 31
	s_delay_alu instid0(SALU_CYCLE_1)
	s_mul_u64 s[22:23], s[20:21], s[6:7]
	s_lshl_b32 s21, s16, 5
	s_branch .LBB56_11
.LBB56_10:                              ;   in Loop: Header=BB56_11 Depth=1
	s_wait_alu 0xfffe
	s_or_b32 exec_lo, exec_lo, s24
	v_add_nc_u32_e32 v1, 32, v1
	v_add_nc_u32_e32 v0, s21, v0
	s_delay_alu instid0(VALU_DEP_2)
	v_cmp_le_i32_e32 vcc_lo, s16, v1
	s_or_b32 s17, vcc_lo, s17
	s_wait_alu 0xfffe
	s_and_not1_b32 exec_lo, exec_lo, s17
	s_cbranch_execz .LBB56_27
.LBB56_11:                              ; =>This Loop Header: Depth=1
                                        ;     Child Loop BB56_15 Depth 2
                                        ;       Child Loop BB56_18 Depth 3
	v_mov_b32_e32 v17, 0
	s_and_not1_b32 vcc_lo, exec_lo, s13
	s_wait_alu 0xfffe
	s_cbranch_vccnz .LBB56_22
; %bb.12:                               ;   in Loop: Header=BB56_11 Depth=1
	v_ashrrev_i32_e32 v5, 31, v0
	v_add_co_u32 v18, vcc_lo, s22, v0
	v_mov_b32_e32 v17, 0
	s_mov_b32 s24, s20
	s_wait_alu 0xfffd
	v_add_co_ci_u32_e64 v19, null, s23, v5, vcc_lo
	s_branch .LBB56_15
.LBB56_13:                              ;   in Loop: Header=BB56_15 Depth=2
	s_or_b32 exec_lo, exec_lo, s25
.LBB56_14:                              ;   in Loop: Header=BB56_15 Depth=2
	s_wait_alu 0xfffe
	s_or_b32 exec_lo, exec_lo, s28
	v_add_co_u32 v18, vcc_lo, v18, s6
	s_wait_alu 0xfffd
	v_add_co_ci_u32_e64 v19, null, s7, v19, vcc_lo
	s_add_co_i32 s24, s24, 1
	s_wait_alu 0xfffe
	s_cmp_ge_i32 s24, s3
	s_cbranch_scc1 .LBB56_22
.LBB56_15:                              ;   Parent Loop BB56_11 Depth=1
                                        ; =>  This Loop Header: Depth=2
                                        ;       Child Loop BB56_18 Depth 3
	s_and_saveexec_b32 s28, s0
	s_cbranch_execz .LBB56_14
; %bb.16:                               ;   in Loop: Header=BB56_15 Depth=2
	s_wait_alu 0xfffe
	s_ashr_i32 s25, s24, 31
	s_wait_dscnt 0x0
	v_mad_co_u64_u32 v[5:6], null, s6, s24, v[1:2]
	s_wait_alu 0xfffe
	s_lshl_b64 s[30:31], s[24:25], 2
	s_mul_i32 s25, s6, s25
	s_wait_alu 0xfffe
	s_add_nc_u64 s[30:31], s[8:9], s[30:31]
	v_mov_b32_e32 v8, v4
	s_load_b32 s29, s[30:31], 0x0
	s_mul_i32 s30, s7, s24
	v_dual_mov_b32 v20, v11 :: v_dual_mov_b32 v7, v3
	s_wait_alu 0xfffe
	v_add3_u32 v6, s25, s30, v6
	s_wait_kmcnt 0x0
	s_sub_co_i32 s25, s29, s2
	s_wait_alu 0xfffe
	s_mul_i32 s29, s25, s16
	s_mov_b32 s25, 0
	s_branch .LBB56_18
.LBB56_17:                              ;   in Loop: Header=BB56_18 Depth=3
	v_add_nc_u32_e32 v21, s29, v7
	s_delay_alu instid0(VALU_DEP_2) | instskip(SKIP_1) | instid1(VALU_DEP_3)
	v_lshlrev_b64_e32 v[9:10], 1, v[9:10]
	v_add_nc_u32_e32 v20, s21, v20
	v_ashrrev_i32_e32 v22, 31, v21
	s_delay_alu instid0(VALU_DEP_3) | instskip(SKIP_1) | instid1(VALU_DEP_4)
	v_add_co_u32 v9, vcc_lo, s10, v9
	s_wait_alu 0xfffd
	v_add_co_ci_u32_e64 v10, null, s11, v10, vcc_lo
	s_delay_alu instid0(VALU_DEP_3) | instskip(NEXT) | instid1(VALU_DEP_1)
	v_lshlrev_b64_e32 v[21:22], 1, v[21:22]
	v_add_co_u32 v21, vcc_lo, s18, v21
	s_wait_alu 0xfffd
	s_delay_alu instid0(VALU_DEP_2)
	v_add_co_ci_u32_e64 v22, null, s19, v22, vcc_lo
	v_add_co_u32 v7, vcc_lo, v7, 32
	global_load_u16 v9, v[9:10], off
	global_load_u16 v10, v[21:22], off
	s_wait_alu 0xfffd
	v_add_co_ci_u32_e64 v8, null, 0, v8, vcc_lo
	v_cmp_le_i32_e32 vcc_lo, s16, v7
	s_or_b32 s25, vcc_lo, s25
	s_wait_loadcnt 0x0
	v_fma_mix_f32 v17, v9, v10, v17 op_sel_hi:[1,1,0]
	s_wait_alu 0xfffe
	s_and_not1_b32 exec_lo, exec_lo, s25
	s_cbranch_execz .LBB56_13
.LBB56_18:                              ;   Parent Loop BB56_11 Depth=1
                                        ;     Parent Loop BB56_15 Depth=2
                                        ; =>    This Inner Loop Header: Depth=3
	s_and_b32 vcc_lo, exec_lo, s15
	s_wait_alu 0xfffe
	s_cbranch_vccz .LBB56_20
; %bb.19:                               ;   in Loop: Header=BB56_18 Depth=3
	v_ashrrev_i32_e32 v10, 31, v20
	v_add_co_u32 v9, vcc_lo, v5, v20
	s_wait_alu 0xfffd
	s_delay_alu instid0(VALU_DEP_2)
	v_add_co_ci_u32_e64 v10, null, v6, v10, vcc_lo
	s_cbranch_execnz .LBB56_17
	s_branch .LBB56_21
.LBB56_20:                              ;   in Loop: Header=BB56_18 Depth=3
                                        ; implicit-def: $vgpr9_vgpr10
.LBB56_21:                              ;   in Loop: Header=BB56_18 Depth=3
	v_add_co_u32 v9, vcc_lo, v18, v7
	s_wait_alu 0xfffd
	v_add_co_ci_u32_e64 v10, null, v19, v8, vcc_lo
	s_branch .LBB56_17
.LBB56_22:                              ;   in Loop: Header=BB56_11 Depth=1
	ds_bpermute_b32 v5, v12, v17
	s_wait_dscnt 0x0
	v_add_f32_e32 v5, v17, v5
	ds_bpermute_b32 v6, v13, v5
	s_wait_dscnt 0x0
	v_add_f32_e32 v5, v5, v6
	;; [unrolled: 3-line block ×4, first 2 shown]
	ds_bpermute_b32 v6, v16, v5
	s_and_saveexec_b32 s24, s1
	s_cbranch_execz .LBB56_10
; %bb.23:                               ;   in Loop: Header=BB56_11 Depth=1
	s_wait_dscnt 0x0
	v_dual_add_f32 v6, v5, v6 :: v_dual_add_nc_u32 v5, s27, v1
	s_and_b32 vcc_lo, exec_lo, s26
	s_delay_alu instid0(VALU_DEP_1) | instskip(NEXT) | instid1(VALU_DEP_2)
	v_mul_f32_e32 v7, s12, v6
	v_ashrrev_i32_e32 v6, 31, v5
	s_wait_alu 0xfffe
	s_cbranch_vccz .LBB56_25
; %bb.24:                               ;   in Loop: Header=BB56_11 Depth=1
	s_delay_alu instid0(VALU_DEP_1) | instskip(NEXT) | instid1(VALU_DEP_1)
	v_lshlrev_b64_e32 v[8:9], 2, v[5:6]
	v_add_co_u32 v8, vcc_lo, s4, v8
	s_wait_alu 0xfffd
	s_delay_alu instid0(VALU_DEP_2)
	v_add_co_ci_u32_e64 v9, null, s5, v9, vcc_lo
	global_store_b32 v[8:9], v7, off
	s_cbranch_execnz .LBB56_10
	s_branch .LBB56_26
.LBB56_25:                              ;   in Loop: Header=BB56_11 Depth=1
.LBB56_26:                              ;   in Loop: Header=BB56_11 Depth=1
	s_delay_alu instid0(VALU_DEP_1) | instskip(NEXT) | instid1(VALU_DEP_1)
	v_lshlrev_b64_e32 v[5:6], 2, v[5:6]
	v_add_co_u32 v5, vcc_lo, s4, v5
	s_wait_alu 0xfffd
	s_delay_alu instid0(VALU_DEP_2)
	v_add_co_ci_u32_e64 v6, null, s5, v6, vcc_lo
	global_load_b32 v8, v[5:6], off
	s_wait_loadcnt 0x0
	v_fmac_f32_e32 v7, s14, v8
	global_store_b32 v[5:6], v7, off
	s_branch .LBB56_10
.LBB56_27:
	s_endpgm
	.section	.rodata,"a",@progbits
	.p2align	6, 0x0
	.amdhsa_kernel _ZN9rocsparseL22bsrxmvn_general_kernelILj1024ELj32EfiiDF16_DF16_fEEv20rocsparse_direction_NS_24const_host_device_scalarIT1_EET3_PKS5_PKT2_SA_S7_PKT4_S5_PKT5_S4_PT6_21rocsparse_index_base_b
		.amdhsa_group_segment_fixed_size 0
		.amdhsa_private_segment_fixed_size 0
		.amdhsa_kernarg_size 104
		.amdhsa_user_sgpr_count 2
		.amdhsa_user_sgpr_dispatch_ptr 0
		.amdhsa_user_sgpr_queue_ptr 0
		.amdhsa_user_sgpr_kernarg_segment_ptr 1
		.amdhsa_user_sgpr_dispatch_id 0
		.amdhsa_user_sgpr_private_segment_size 0
		.amdhsa_wavefront_size32 1
		.amdhsa_uses_dynamic_stack 0
		.amdhsa_enable_private_segment 0
		.amdhsa_system_sgpr_workgroup_id_x 1
		.amdhsa_system_sgpr_workgroup_id_y 0
		.amdhsa_system_sgpr_workgroup_id_z 0
		.amdhsa_system_sgpr_workgroup_info 0
		.amdhsa_system_vgpr_workitem_id 0
		.amdhsa_next_free_vgpr 23
		.amdhsa_next_free_sgpr 32
		.amdhsa_reserve_vcc 1
		.amdhsa_float_round_mode_32 0
		.amdhsa_float_round_mode_16_64 0
		.amdhsa_float_denorm_mode_32 3
		.amdhsa_float_denorm_mode_16_64 3
		.amdhsa_fp16_overflow 0
		.amdhsa_workgroup_processor_mode 1
		.amdhsa_memory_ordered 1
		.amdhsa_forward_progress 1
		.amdhsa_inst_pref_size 10
		.amdhsa_round_robin_scheduling 0
		.amdhsa_exception_fp_ieee_invalid_op 0
		.amdhsa_exception_fp_denorm_src 0
		.amdhsa_exception_fp_ieee_div_zero 0
		.amdhsa_exception_fp_ieee_overflow 0
		.amdhsa_exception_fp_ieee_underflow 0
		.amdhsa_exception_fp_ieee_inexact 0
		.amdhsa_exception_int_div_zero 0
	.end_amdhsa_kernel
	.section	.text._ZN9rocsparseL22bsrxmvn_general_kernelILj1024ELj32EfiiDF16_DF16_fEEv20rocsparse_direction_NS_24const_host_device_scalarIT1_EET3_PKS5_PKT2_SA_S7_PKT4_S5_PKT5_S4_PT6_21rocsparse_index_base_b,"axG",@progbits,_ZN9rocsparseL22bsrxmvn_general_kernelILj1024ELj32EfiiDF16_DF16_fEEv20rocsparse_direction_NS_24const_host_device_scalarIT1_EET3_PKS5_PKT2_SA_S7_PKT4_S5_PKT5_S4_PT6_21rocsparse_index_base_b,comdat
.Lfunc_end56:
	.size	_ZN9rocsparseL22bsrxmvn_general_kernelILj1024ELj32EfiiDF16_DF16_fEEv20rocsparse_direction_NS_24const_host_device_scalarIT1_EET3_PKS5_PKT2_SA_S7_PKT4_S5_PKT5_S4_PT6_21rocsparse_index_base_b, .Lfunc_end56-_ZN9rocsparseL22bsrxmvn_general_kernelILj1024ELj32EfiiDF16_DF16_fEEv20rocsparse_direction_NS_24const_host_device_scalarIT1_EET3_PKS5_PKT2_SA_S7_PKT4_S5_PKT5_S4_PT6_21rocsparse_index_base_b
                                        ; -- End function
	.set _ZN9rocsparseL22bsrxmvn_general_kernelILj1024ELj32EfiiDF16_DF16_fEEv20rocsparse_direction_NS_24const_host_device_scalarIT1_EET3_PKS5_PKT2_SA_S7_PKT4_S5_PKT5_S4_PT6_21rocsparse_index_base_b.num_vgpr, 23
	.set _ZN9rocsparseL22bsrxmvn_general_kernelILj1024ELj32EfiiDF16_DF16_fEEv20rocsparse_direction_NS_24const_host_device_scalarIT1_EET3_PKS5_PKT2_SA_S7_PKT4_S5_PKT5_S4_PT6_21rocsparse_index_base_b.num_agpr, 0
	.set _ZN9rocsparseL22bsrxmvn_general_kernelILj1024ELj32EfiiDF16_DF16_fEEv20rocsparse_direction_NS_24const_host_device_scalarIT1_EET3_PKS5_PKT2_SA_S7_PKT4_S5_PKT5_S4_PT6_21rocsparse_index_base_b.numbered_sgpr, 32
	.set _ZN9rocsparseL22bsrxmvn_general_kernelILj1024ELj32EfiiDF16_DF16_fEEv20rocsparse_direction_NS_24const_host_device_scalarIT1_EET3_PKS5_PKT2_SA_S7_PKT4_S5_PKT5_S4_PT6_21rocsparse_index_base_b.num_named_barrier, 0
	.set _ZN9rocsparseL22bsrxmvn_general_kernelILj1024ELj32EfiiDF16_DF16_fEEv20rocsparse_direction_NS_24const_host_device_scalarIT1_EET3_PKS5_PKT2_SA_S7_PKT4_S5_PKT5_S4_PT6_21rocsparse_index_base_b.private_seg_size, 0
	.set _ZN9rocsparseL22bsrxmvn_general_kernelILj1024ELj32EfiiDF16_DF16_fEEv20rocsparse_direction_NS_24const_host_device_scalarIT1_EET3_PKS5_PKT2_SA_S7_PKT4_S5_PKT5_S4_PT6_21rocsparse_index_base_b.uses_vcc, 1
	.set _ZN9rocsparseL22bsrxmvn_general_kernelILj1024ELj32EfiiDF16_DF16_fEEv20rocsparse_direction_NS_24const_host_device_scalarIT1_EET3_PKS5_PKT2_SA_S7_PKT4_S5_PKT5_S4_PT6_21rocsparse_index_base_b.uses_flat_scratch, 0
	.set _ZN9rocsparseL22bsrxmvn_general_kernelILj1024ELj32EfiiDF16_DF16_fEEv20rocsparse_direction_NS_24const_host_device_scalarIT1_EET3_PKS5_PKT2_SA_S7_PKT4_S5_PKT5_S4_PT6_21rocsparse_index_base_b.has_dyn_sized_stack, 0
	.set _ZN9rocsparseL22bsrxmvn_general_kernelILj1024ELj32EfiiDF16_DF16_fEEv20rocsparse_direction_NS_24const_host_device_scalarIT1_EET3_PKS5_PKT2_SA_S7_PKT4_S5_PKT5_S4_PT6_21rocsparse_index_base_b.has_recursion, 0
	.set _ZN9rocsparseL22bsrxmvn_general_kernelILj1024ELj32EfiiDF16_DF16_fEEv20rocsparse_direction_NS_24const_host_device_scalarIT1_EET3_PKS5_PKT2_SA_S7_PKT4_S5_PKT5_S4_PT6_21rocsparse_index_base_b.has_indirect_call, 0
	.section	.AMDGPU.csdata,"",@progbits
; Kernel info:
; codeLenInByte = 1244
; TotalNumSgprs: 34
; NumVgprs: 23
; ScratchSize: 0
; MemoryBound: 0
; FloatMode: 240
; IeeeMode: 1
; LDSByteSize: 0 bytes/workgroup (compile time only)
; SGPRBlocks: 0
; VGPRBlocks: 2
; NumSGPRsForWavesPerEU: 34
; NumVGPRsForWavesPerEU: 23
; Occupancy: 16
; WaveLimiterHint : 1
; COMPUTE_PGM_RSRC2:SCRATCH_EN: 0
; COMPUTE_PGM_RSRC2:USER_SGPR: 2
; COMPUTE_PGM_RSRC2:TRAP_HANDLER: 0
; COMPUTE_PGM_RSRC2:TGID_X_EN: 1
; COMPUTE_PGM_RSRC2:TGID_Y_EN: 0
; COMPUTE_PGM_RSRC2:TGID_Z_EN: 0
; COMPUTE_PGM_RSRC2:TIDIG_COMP_CNT: 0
	.section	.text._ZN9rocsparseL22bsrxmvn_general_kernelILj64ELj8EfliDF16_DF16_fEEv20rocsparse_direction_NS_24const_host_device_scalarIT1_EET3_PKS5_PKT2_SA_S7_PKT4_S5_PKT5_S4_PT6_21rocsparse_index_base_b,"axG",@progbits,_ZN9rocsparseL22bsrxmvn_general_kernelILj64ELj8EfliDF16_DF16_fEEv20rocsparse_direction_NS_24const_host_device_scalarIT1_EET3_PKS5_PKT2_SA_S7_PKT4_S5_PKT5_S4_PT6_21rocsparse_index_base_b,comdat
	.globl	_ZN9rocsparseL22bsrxmvn_general_kernelILj64ELj8EfliDF16_DF16_fEEv20rocsparse_direction_NS_24const_host_device_scalarIT1_EET3_PKS5_PKT2_SA_S7_PKT4_S5_PKT5_S4_PT6_21rocsparse_index_base_b ; -- Begin function _ZN9rocsparseL22bsrxmvn_general_kernelILj64ELj8EfliDF16_DF16_fEEv20rocsparse_direction_NS_24const_host_device_scalarIT1_EET3_PKS5_PKT2_SA_S7_PKT4_S5_PKT5_S4_PT6_21rocsparse_index_base_b
	.p2align	8
	.type	_ZN9rocsparseL22bsrxmvn_general_kernelILj64ELj8EfliDF16_DF16_fEEv20rocsparse_direction_NS_24const_host_device_scalarIT1_EET3_PKS5_PKT2_SA_S7_PKT4_S5_PKT5_S4_PT6_21rocsparse_index_base_b,@function
_ZN9rocsparseL22bsrxmvn_general_kernelILj64ELj8EfliDF16_DF16_fEEv20rocsparse_direction_NS_24const_host_device_scalarIT1_EET3_PKS5_PKT2_SA_S7_PKT4_S5_PKT5_S4_PT6_21rocsparse_index_base_b: ; @_ZN9rocsparseL22bsrxmvn_general_kernelILj64ELj8EfliDF16_DF16_fEEv20rocsparse_direction_NS_24const_host_device_scalarIT1_EET3_PKS5_PKT2_SA_S7_PKT4_S5_PKT5_S4_PT6_21rocsparse_index_base_b
; %bb.0:
	s_clause 0x2
	s_load_b64 s[2:3], s[0:1], 0x60
	s_load_b64 s[12:13], s[0:1], 0x8
	;; [unrolled: 1-line block ×3, first 2 shown]
	s_wait_kmcnt 0x0
	s_bitcmp1_b32 s3, 0
	s_cselect_b32 s3, -1, 0
	s_delay_alu instid0(SALU_CYCLE_1)
	s_and_b32 vcc_lo, exec_lo, s3
	s_xor_b32 s3, s3, -1
	s_cbranch_vccnz .LBB57_2
; %bb.1:
	s_load_b32 s12, s[12:13], 0x0
.LBB57_2:
	s_and_not1_b32 vcc_lo, exec_lo, s3
	s_cbranch_vccnz .LBB57_4
; %bb.3:
	s_load_b32 s14, s[14:15], 0x0
.LBB57_4:
	s_wait_kmcnt 0x0
	s_cmp_neq_f32 s12, 0
	s_cselect_b32 s3, -1, 0
	s_cmp_neq_f32 s14, 1.0
	s_cselect_b32 s4, -1, 0
	s_delay_alu instid0(SALU_CYCLE_1) | instskip(NEXT) | instid1(SALU_CYCLE_1)
	s_or_b32 s3, s3, s4
	s_and_not1_b32 vcc_lo, exec_lo, s3
	s_cbranch_vccnz .LBB57_27
; %bb.5:
	s_load_b64 s[4:5], s[0:1], 0x18
	s_wait_kmcnt 0x0
	s_cmp_eq_u64 s[4:5], 0
	s_cbranch_scc1 .LBB57_7
; %bb.6:
	s_mov_b32 s6, ttmp9
	s_ashr_i32 s7, ttmp9, 31
	s_delay_alu instid0(SALU_CYCLE_1) | instskip(NEXT) | instid1(SALU_CYCLE_1)
	s_lshl_b64 s[6:7], s[6:7], 2
	s_add_nc_u64 s[4:5], s[4:5], s[6:7]
	s_load_b32 s3, s[4:5], 0x0
	s_wait_kmcnt 0x0
	s_sub_co_i32 s24, s3, s2
	s_branch .LBB57_8
.LBB57_7:
	s_mov_b32 s24, ttmp9
.LBB57_8:
	s_load_b32 s16, s[0:1], 0x40
	v_lshrrev_b32_e32 v1, 3, v0
	s_mov_b32 s3, exec_lo
	s_wait_kmcnt 0x0
	s_delay_alu instid0(VALU_DEP_1)
	v_cmpx_gt_i32_e64 s16, v1
	s_cbranch_execz .LBB57_27
; %bb.9:
	s_clause 0x2
	s_load_b256 s[4:11], s[0:1], 0x20
	s_load_b64 s[18:19], s[0:1], 0x58
	s_load_b64 s[20:21], s[0:1], 0x48
	s_ashr_i32 s25, s24, 31
	v_mbcnt_lo_u32_b32 v2, -1, 0
	s_load_b32 s13, s[0:1], 0x0
	s_lshl_b64 s[0:1], s[24:25], 3
	v_dual_mov_b32 v4, 0 :: v_dual_and_b32 v3, 7, v0
	s_delay_alu instid0(VALU_DEP_2)
	v_xor_b32_e32 v5, 4, v2
	v_xor_b32_e32 v6, 2, v2
	;; [unrolled: 1-line block ×3, first 2 shown]
	s_mov_b32 s3, 0
	v_mul_lo_u32 v0, s16, v1
	v_cmp_gt_i32_e32 vcc_lo, 32, v5
	s_mov_b32 s17, s3
	v_mul_lo_u32 v11, s16, v3
	s_wait_alu 0xfffe
	s_mul_u64 s[22:23], s[16:17], s[16:17]
	v_cndmask_b32_e32 v5, v2, v5, vcc_lo
	s_wait_kmcnt 0x0
	s_add_nc_u64 s[4:5], s[4:5], s[0:1]
	s_add_nc_u64 s[26:27], s[6:7], s[0:1]
	s_cmp_eq_u64 s[6:7], 0
	s_add_nc_u64 s[6:7], s[4:5], 8
	v_cmp_gt_i32_e32 vcc_lo, 32, v6
	s_cselect_b32 s7, s7, s27
	s_cselect_b32 s6, s6, s26
	s_load_b64 s[26:27], s[4:5], 0x0
	s_load_b64 s[28:29], s[6:7], 0x0
	s_cmp_lg_u32 s13, 0
	v_cndmask_b32_e32 v6, v2, v6, vcc_lo
	v_cmp_gt_i32_e32 vcc_lo, 32, v7
	s_cselect_b32 s13, -1, 0
	s_cmp_eq_f32 s14, 0
	v_cmp_gt_u32_e64 s0, s16, v3
	v_cmp_eq_u32_e64 s1, 7, v3
	s_wait_alu 0xfffd
	v_dual_cndmask_b32 v2, v2, v7 :: v_dual_lshlrev_b32 v13, 2, v6
	s_cselect_b32 s15, -1, 0
	s_delay_alu instid0(VALU_DEP_1)
	v_lshlrev_b32_e32 v14, 2, v2
	v_lshlrev_b32_e32 v12, 2, v5
	s_wait_kmcnt 0x0
	s_sub_nc_u64 s[4:5], s[26:27], s[2:3]
	v_cmp_lt_i64_e64 s17, s[26:27], s[28:29]
	s_sub_nc_u64 s[6:7], s[28:29], s[2:3]
	s_mul_i32 s28, s24, s16
	s_mul_u64 s[24:25], s[4:5], s[22:23]
	s_lshl_b32 s29, s16, 3
	s_branch .LBB57_11
.LBB57_10:                              ;   in Loop: Header=BB57_11 Depth=1
	s_wait_alu 0xfffe
	s_or_b32 exec_lo, exec_lo, s26
	v_add_nc_u32_e32 v1, 8, v1
	v_add_nc_u32_e32 v0, s29, v0
	s_delay_alu instid0(VALU_DEP_2) | instskip(SKIP_1) | instid1(SALU_CYCLE_1)
	v_cmp_le_i32_e32 vcc_lo, s16, v1
	s_or_b32 s3, vcc_lo, s3
	s_and_not1_b32 exec_lo, exec_lo, s3
	s_cbranch_execz .LBB57_27
.LBB57_11:                              ; =>This Loop Header: Depth=1
                                        ;     Child Loop BB57_15 Depth 2
                                        ;       Child Loop BB57_18 Depth 3
	v_mov_b32_e32 v15, 0
	s_and_not1_b32 vcc_lo, exec_lo, s17
	s_wait_alu 0xfffe
	s_cbranch_vccnz .LBB57_22
; %bb.12:                               ;   in Loop: Header=BB57_11 Depth=1
	s_wait_dscnt 0x0
	v_ashrrev_i32_e32 v5, 31, v0
	v_add_co_u32 v16, vcc_lo, s24, v0
	v_ashrrev_i32_e32 v2, 31, v1
	v_mov_b32_e32 v15, 0
	s_wait_alu 0xfffd
	v_add_co_ci_u32_e64 v17, null, s25, v5, vcc_lo
	s_mov_b64 s[26:27], s[4:5]
	s_branch .LBB57_15
.LBB57_13:                              ;   in Loop: Header=BB57_15 Depth=2
	s_or_b32 exec_lo, exec_lo, s31
.LBB57_14:                              ;   in Loop: Header=BB57_15 Depth=2
	s_delay_alu instid0(SALU_CYCLE_1)
	s_or_b32 exec_lo, exec_lo, s30
	s_wait_alu 0xfffe
	s_add_nc_u64 s[26:27], s[26:27], 1
	v_add_co_u32 v16, vcc_lo, v16, s22
	s_wait_alu 0xfffe
	v_cmp_ge_i64_e64 s30, s[26:27], s[6:7]
	s_wait_alu 0xfffd
	v_add_co_ci_u32_e64 v17, null, s23, v17, vcc_lo
	s_and_b32 vcc_lo, exec_lo, s30
	s_wait_alu 0xfffe
	s_cbranch_vccnz .LBB57_22
.LBB57_15:                              ;   Parent Loop BB57_11 Depth=1
                                        ; =>  This Loop Header: Depth=2
                                        ;       Child Loop BB57_18 Depth 3
	s_and_saveexec_b32 s30, s0
	s_cbranch_execz .LBB57_14
; %bb.16:                               ;   in Loop: Header=BB57_15 Depth=2
	s_wait_alu 0xfffe
	s_lshl_b64 s[34:35], s[26:27], 2
	v_mad_co_u64_u32 v[5:6], null, s22, s26, v[1:2]
	s_wait_alu 0xfffe
	s_add_nc_u64 s[34:35], s[8:9], s[34:35]
	s_mul_i32 s33, s23, s26
	s_load_b32 s31, s[34:35], 0x0
	s_mul_i32 s34, s22, s27
	v_mov_b32_e32 v8, v4
	v_dual_mov_b32 v18, v11 :: v_dual_mov_b32 v7, v3
	s_wait_alu 0xfffe
	v_add3_u32 v6, s34, s33, v6
	s_wait_kmcnt 0x0
	s_sub_co_i32 s31, s31, s2
	s_delay_alu instid0(SALU_CYCLE_1)
	s_mul_i32 s33, s31, s16
	s_mov_b32 s31, 0
	s_branch .LBB57_18
.LBB57_17:                              ;   in Loop: Header=BB57_18 Depth=3
	v_add_nc_u32_e32 v19, s33, v7
	s_delay_alu instid0(VALU_DEP_2) | instskip(SKIP_1) | instid1(VALU_DEP_3)
	v_lshlrev_b64_e32 v[9:10], 1, v[9:10]
	v_add_nc_u32_e32 v18, s29, v18
	v_ashrrev_i32_e32 v20, 31, v19
	s_delay_alu instid0(VALU_DEP_3) | instskip(SKIP_1) | instid1(VALU_DEP_4)
	v_add_co_u32 v9, vcc_lo, s10, v9
	s_wait_alu 0xfffd
	v_add_co_ci_u32_e64 v10, null, s11, v10, vcc_lo
	s_delay_alu instid0(VALU_DEP_3) | instskip(NEXT) | instid1(VALU_DEP_1)
	v_lshlrev_b64_e32 v[19:20], 1, v[19:20]
	v_add_co_u32 v19, vcc_lo, s20, v19
	s_wait_alu 0xfffd
	s_delay_alu instid0(VALU_DEP_2)
	v_add_co_ci_u32_e64 v20, null, s21, v20, vcc_lo
	v_add_co_u32 v7, vcc_lo, v7, 8
	global_load_u16 v9, v[9:10], off
	global_load_u16 v10, v[19:20], off
	s_wait_alu 0xfffd
	v_add_co_ci_u32_e64 v8, null, 0, v8, vcc_lo
	v_cmp_le_i32_e32 vcc_lo, s16, v7
	s_or_b32 s31, vcc_lo, s31
	s_wait_loadcnt 0x0
	v_fma_mix_f32 v15, v9, v10, v15 op_sel_hi:[1,1,0]
	s_and_not1_b32 exec_lo, exec_lo, s31
	s_cbranch_execz .LBB57_13
.LBB57_18:                              ;   Parent Loop BB57_11 Depth=1
                                        ;     Parent Loop BB57_15 Depth=2
                                        ; =>    This Inner Loop Header: Depth=3
	s_and_b32 vcc_lo, exec_lo, s13
	s_wait_alu 0xfffe
	s_cbranch_vccz .LBB57_20
; %bb.19:                               ;   in Loop: Header=BB57_18 Depth=3
	v_ashrrev_i32_e32 v10, 31, v18
	v_add_co_u32 v9, vcc_lo, v5, v18
	s_wait_alu 0xfffd
	s_delay_alu instid0(VALU_DEP_2)
	v_add_co_ci_u32_e64 v10, null, v6, v10, vcc_lo
	s_cbranch_execnz .LBB57_17
	s_branch .LBB57_21
.LBB57_20:                              ;   in Loop: Header=BB57_18 Depth=3
                                        ; implicit-def: $vgpr9_vgpr10
.LBB57_21:                              ;   in Loop: Header=BB57_18 Depth=3
	v_add_co_u32 v9, vcc_lo, v16, v7
	s_wait_alu 0xfffd
	v_add_co_ci_u32_e64 v10, null, v17, v8, vcc_lo
	s_branch .LBB57_17
.LBB57_22:                              ;   in Loop: Header=BB57_11 Depth=1
	ds_bpermute_b32 v2, v12, v15
	s_wait_dscnt 0x0
	v_add_f32_e32 v2, v15, v2
	ds_bpermute_b32 v5, v13, v2
	s_wait_dscnt 0x0
	v_add_f32_e32 v2, v2, v5
	ds_bpermute_b32 v5, v14, v2
	s_and_saveexec_b32 s26, s1
	s_cbranch_execz .LBB57_10
; %bb.23:                               ;   in Loop: Header=BB57_11 Depth=1
	s_wait_dscnt 0x0
	v_add_f32_e32 v2, v2, v5
	v_add_nc_u32_e32 v5, s28, v1
	s_and_b32 vcc_lo, exec_lo, s15
	s_delay_alu instid0(VALU_DEP_2) | instskip(NEXT) | instid1(VALU_DEP_2)
	v_mul_f32_e32 v2, s12, v2
	v_ashrrev_i32_e32 v6, 31, v5
	s_wait_alu 0xfffe
	s_cbranch_vccz .LBB57_25
; %bb.24:                               ;   in Loop: Header=BB57_11 Depth=1
	s_delay_alu instid0(VALU_DEP_1) | instskip(NEXT) | instid1(VALU_DEP_1)
	v_lshlrev_b64_e32 v[7:8], 2, v[5:6]
	v_add_co_u32 v7, vcc_lo, s18, v7
	s_wait_alu 0xfffd
	s_delay_alu instid0(VALU_DEP_2)
	v_add_co_ci_u32_e64 v8, null, s19, v8, vcc_lo
	global_store_b32 v[7:8], v2, off
	s_cbranch_execnz .LBB57_10
	s_branch .LBB57_26
.LBB57_25:                              ;   in Loop: Header=BB57_11 Depth=1
.LBB57_26:                              ;   in Loop: Header=BB57_11 Depth=1
	s_delay_alu instid0(VALU_DEP_1) | instskip(NEXT) | instid1(VALU_DEP_1)
	v_lshlrev_b64_e32 v[5:6], 2, v[5:6]
	v_add_co_u32 v5, vcc_lo, s18, v5
	s_wait_alu 0xfffd
	s_delay_alu instid0(VALU_DEP_2)
	v_add_co_ci_u32_e64 v6, null, s19, v6, vcc_lo
	global_load_b32 v7, v[5:6], off
	s_wait_loadcnt 0x0
	v_fmac_f32_e32 v2, s14, v7
	global_store_b32 v[5:6], v2, off
	s_branch .LBB57_10
.LBB57_27:
	s_endpgm
	.section	.rodata,"a",@progbits
	.p2align	6, 0x0
	.amdhsa_kernel _ZN9rocsparseL22bsrxmvn_general_kernelILj64ELj8EfliDF16_DF16_fEEv20rocsparse_direction_NS_24const_host_device_scalarIT1_EET3_PKS5_PKT2_SA_S7_PKT4_S5_PKT5_S4_PT6_21rocsparse_index_base_b
		.amdhsa_group_segment_fixed_size 0
		.amdhsa_private_segment_fixed_size 0
		.amdhsa_kernarg_size 104
		.amdhsa_user_sgpr_count 2
		.amdhsa_user_sgpr_dispatch_ptr 0
		.amdhsa_user_sgpr_queue_ptr 0
		.amdhsa_user_sgpr_kernarg_segment_ptr 1
		.amdhsa_user_sgpr_dispatch_id 0
		.amdhsa_user_sgpr_private_segment_size 0
		.amdhsa_wavefront_size32 1
		.amdhsa_uses_dynamic_stack 0
		.amdhsa_enable_private_segment 0
		.amdhsa_system_sgpr_workgroup_id_x 1
		.amdhsa_system_sgpr_workgroup_id_y 0
		.amdhsa_system_sgpr_workgroup_id_z 0
		.amdhsa_system_sgpr_workgroup_info 0
		.amdhsa_system_vgpr_workitem_id 0
		.amdhsa_next_free_vgpr 21
		.amdhsa_next_free_sgpr 36
		.amdhsa_reserve_vcc 1
		.amdhsa_float_round_mode_32 0
		.amdhsa_float_round_mode_16_64 0
		.amdhsa_float_denorm_mode_32 3
		.amdhsa_float_denorm_mode_16_64 3
		.amdhsa_fp16_overflow 0
		.amdhsa_workgroup_processor_mode 1
		.amdhsa_memory_ordered 1
		.amdhsa_forward_progress 1
		.amdhsa_inst_pref_size 10
		.amdhsa_round_robin_scheduling 0
		.amdhsa_exception_fp_ieee_invalid_op 0
		.amdhsa_exception_fp_denorm_src 0
		.amdhsa_exception_fp_ieee_div_zero 0
		.amdhsa_exception_fp_ieee_overflow 0
		.amdhsa_exception_fp_ieee_underflow 0
		.amdhsa_exception_fp_ieee_inexact 0
		.amdhsa_exception_int_div_zero 0
	.end_amdhsa_kernel
	.section	.text._ZN9rocsparseL22bsrxmvn_general_kernelILj64ELj8EfliDF16_DF16_fEEv20rocsparse_direction_NS_24const_host_device_scalarIT1_EET3_PKS5_PKT2_SA_S7_PKT4_S5_PKT5_S4_PT6_21rocsparse_index_base_b,"axG",@progbits,_ZN9rocsparseL22bsrxmvn_general_kernelILj64ELj8EfliDF16_DF16_fEEv20rocsparse_direction_NS_24const_host_device_scalarIT1_EET3_PKS5_PKT2_SA_S7_PKT4_S5_PKT5_S4_PT6_21rocsparse_index_base_b,comdat
.Lfunc_end57:
	.size	_ZN9rocsparseL22bsrxmvn_general_kernelILj64ELj8EfliDF16_DF16_fEEv20rocsparse_direction_NS_24const_host_device_scalarIT1_EET3_PKS5_PKT2_SA_S7_PKT4_S5_PKT5_S4_PT6_21rocsparse_index_base_b, .Lfunc_end57-_ZN9rocsparseL22bsrxmvn_general_kernelILj64ELj8EfliDF16_DF16_fEEv20rocsparse_direction_NS_24const_host_device_scalarIT1_EET3_PKS5_PKT2_SA_S7_PKT4_S5_PKT5_S4_PT6_21rocsparse_index_base_b
                                        ; -- End function
	.set _ZN9rocsparseL22bsrxmvn_general_kernelILj64ELj8EfliDF16_DF16_fEEv20rocsparse_direction_NS_24const_host_device_scalarIT1_EET3_PKS5_PKT2_SA_S7_PKT4_S5_PKT5_S4_PT6_21rocsparse_index_base_b.num_vgpr, 21
	.set _ZN9rocsparseL22bsrxmvn_general_kernelILj64ELj8EfliDF16_DF16_fEEv20rocsparse_direction_NS_24const_host_device_scalarIT1_EET3_PKS5_PKT2_SA_S7_PKT4_S5_PKT5_S4_PT6_21rocsparse_index_base_b.num_agpr, 0
	.set _ZN9rocsparseL22bsrxmvn_general_kernelILj64ELj8EfliDF16_DF16_fEEv20rocsparse_direction_NS_24const_host_device_scalarIT1_EET3_PKS5_PKT2_SA_S7_PKT4_S5_PKT5_S4_PT6_21rocsparse_index_base_b.numbered_sgpr, 36
	.set _ZN9rocsparseL22bsrxmvn_general_kernelILj64ELj8EfliDF16_DF16_fEEv20rocsparse_direction_NS_24const_host_device_scalarIT1_EET3_PKS5_PKT2_SA_S7_PKT4_S5_PKT5_S4_PT6_21rocsparse_index_base_b.num_named_barrier, 0
	.set _ZN9rocsparseL22bsrxmvn_general_kernelILj64ELj8EfliDF16_DF16_fEEv20rocsparse_direction_NS_24const_host_device_scalarIT1_EET3_PKS5_PKT2_SA_S7_PKT4_S5_PKT5_S4_PT6_21rocsparse_index_base_b.private_seg_size, 0
	.set _ZN9rocsparseL22bsrxmvn_general_kernelILj64ELj8EfliDF16_DF16_fEEv20rocsparse_direction_NS_24const_host_device_scalarIT1_EET3_PKS5_PKT2_SA_S7_PKT4_S5_PKT5_S4_PT6_21rocsparse_index_base_b.uses_vcc, 1
	.set _ZN9rocsparseL22bsrxmvn_general_kernelILj64ELj8EfliDF16_DF16_fEEv20rocsparse_direction_NS_24const_host_device_scalarIT1_EET3_PKS5_PKT2_SA_S7_PKT4_S5_PKT5_S4_PT6_21rocsparse_index_base_b.uses_flat_scratch, 0
	.set _ZN9rocsparseL22bsrxmvn_general_kernelILj64ELj8EfliDF16_DF16_fEEv20rocsparse_direction_NS_24const_host_device_scalarIT1_EET3_PKS5_PKT2_SA_S7_PKT4_S5_PKT5_S4_PT6_21rocsparse_index_base_b.has_dyn_sized_stack, 0
	.set _ZN9rocsparseL22bsrxmvn_general_kernelILj64ELj8EfliDF16_DF16_fEEv20rocsparse_direction_NS_24const_host_device_scalarIT1_EET3_PKS5_PKT2_SA_S7_PKT4_S5_PKT5_S4_PT6_21rocsparse_index_base_b.has_recursion, 0
	.set _ZN9rocsparseL22bsrxmvn_general_kernelILj64ELj8EfliDF16_DF16_fEEv20rocsparse_direction_NS_24const_host_device_scalarIT1_EET3_PKS5_PKT2_SA_S7_PKT4_S5_PKT5_S4_PT6_21rocsparse_index_base_b.has_indirect_call, 0
	.section	.AMDGPU.csdata,"",@progbits
; Kernel info:
; codeLenInByte = 1164
; TotalNumSgprs: 38
; NumVgprs: 21
; ScratchSize: 0
; MemoryBound: 0
; FloatMode: 240
; IeeeMode: 1
; LDSByteSize: 0 bytes/workgroup (compile time only)
; SGPRBlocks: 0
; VGPRBlocks: 2
; NumSGPRsForWavesPerEU: 38
; NumVGPRsForWavesPerEU: 21
; Occupancy: 16
; WaveLimiterHint : 1
; COMPUTE_PGM_RSRC2:SCRATCH_EN: 0
; COMPUTE_PGM_RSRC2:USER_SGPR: 2
; COMPUTE_PGM_RSRC2:TRAP_HANDLER: 0
; COMPUTE_PGM_RSRC2:TGID_X_EN: 1
; COMPUTE_PGM_RSRC2:TGID_Y_EN: 0
; COMPUTE_PGM_RSRC2:TGID_Z_EN: 0
; COMPUTE_PGM_RSRC2:TIDIG_COMP_CNT: 0
	.section	.text._ZN9rocsparseL22bsrxmvn_general_kernelILj256ELj16EfliDF16_DF16_fEEv20rocsparse_direction_NS_24const_host_device_scalarIT1_EET3_PKS5_PKT2_SA_S7_PKT4_S5_PKT5_S4_PT6_21rocsparse_index_base_b,"axG",@progbits,_ZN9rocsparseL22bsrxmvn_general_kernelILj256ELj16EfliDF16_DF16_fEEv20rocsparse_direction_NS_24const_host_device_scalarIT1_EET3_PKS5_PKT2_SA_S7_PKT4_S5_PKT5_S4_PT6_21rocsparse_index_base_b,comdat
	.globl	_ZN9rocsparseL22bsrxmvn_general_kernelILj256ELj16EfliDF16_DF16_fEEv20rocsparse_direction_NS_24const_host_device_scalarIT1_EET3_PKS5_PKT2_SA_S7_PKT4_S5_PKT5_S4_PT6_21rocsparse_index_base_b ; -- Begin function _ZN9rocsparseL22bsrxmvn_general_kernelILj256ELj16EfliDF16_DF16_fEEv20rocsparse_direction_NS_24const_host_device_scalarIT1_EET3_PKS5_PKT2_SA_S7_PKT4_S5_PKT5_S4_PT6_21rocsparse_index_base_b
	.p2align	8
	.type	_ZN9rocsparseL22bsrxmvn_general_kernelILj256ELj16EfliDF16_DF16_fEEv20rocsparse_direction_NS_24const_host_device_scalarIT1_EET3_PKS5_PKT2_SA_S7_PKT4_S5_PKT5_S4_PT6_21rocsparse_index_base_b,@function
_ZN9rocsparseL22bsrxmvn_general_kernelILj256ELj16EfliDF16_DF16_fEEv20rocsparse_direction_NS_24const_host_device_scalarIT1_EET3_PKS5_PKT2_SA_S7_PKT4_S5_PKT5_S4_PT6_21rocsparse_index_base_b: ; @_ZN9rocsparseL22bsrxmvn_general_kernelILj256ELj16EfliDF16_DF16_fEEv20rocsparse_direction_NS_24const_host_device_scalarIT1_EET3_PKS5_PKT2_SA_S7_PKT4_S5_PKT5_S4_PT6_21rocsparse_index_base_b
; %bb.0:
	s_clause 0x2
	s_load_b64 s[2:3], s[0:1], 0x60
	s_load_b64 s[12:13], s[0:1], 0x8
	;; [unrolled: 1-line block ×3, first 2 shown]
	s_wait_kmcnt 0x0
	s_bitcmp1_b32 s3, 0
	s_cselect_b32 s3, -1, 0
	s_delay_alu instid0(SALU_CYCLE_1)
	s_and_b32 vcc_lo, exec_lo, s3
	s_xor_b32 s3, s3, -1
	s_cbranch_vccnz .LBB58_2
; %bb.1:
	s_load_b32 s12, s[12:13], 0x0
.LBB58_2:
	s_and_not1_b32 vcc_lo, exec_lo, s3
	s_cbranch_vccnz .LBB58_4
; %bb.3:
	s_load_b32 s14, s[14:15], 0x0
.LBB58_4:
	s_wait_kmcnt 0x0
	s_cmp_neq_f32 s12, 0
	s_cselect_b32 s3, -1, 0
	s_cmp_neq_f32 s14, 1.0
	s_cselect_b32 s4, -1, 0
	s_delay_alu instid0(SALU_CYCLE_1) | instskip(NEXT) | instid1(SALU_CYCLE_1)
	s_or_b32 s3, s3, s4
	s_and_not1_b32 vcc_lo, exec_lo, s3
	s_cbranch_vccnz .LBB58_27
; %bb.5:
	s_load_b64 s[4:5], s[0:1], 0x18
	s_wait_kmcnt 0x0
	s_cmp_eq_u64 s[4:5], 0
	s_cbranch_scc1 .LBB58_7
; %bb.6:
	s_mov_b32 s6, ttmp9
	s_ashr_i32 s7, ttmp9, 31
	s_delay_alu instid0(SALU_CYCLE_1) | instskip(NEXT) | instid1(SALU_CYCLE_1)
	s_lshl_b64 s[6:7], s[6:7], 2
	s_add_nc_u64 s[4:5], s[4:5], s[6:7]
	s_load_b32 s3, s[4:5], 0x0
	s_wait_kmcnt 0x0
	s_sub_co_i32 s24, s3, s2
	s_branch .LBB58_8
.LBB58_7:
	s_mov_b32 s24, ttmp9
.LBB58_8:
	s_load_b32 s16, s[0:1], 0x40
	v_lshrrev_b32_e32 v1, 4, v0
	s_mov_b32 s3, exec_lo
	s_wait_kmcnt 0x0
	s_delay_alu instid0(VALU_DEP_1)
	v_cmpx_gt_i32_e64 s16, v1
	s_cbranch_execz .LBB58_27
; %bb.9:
	s_clause 0x2
	s_load_b256 s[4:11], s[0:1], 0x20
	s_load_b64 s[18:19], s[0:1], 0x58
	s_load_b64 s[20:21], s[0:1], 0x48
	v_mbcnt_lo_u32_b32 v2, -1, 0
	s_ashr_i32 s25, s24, 31
	s_load_b32 s13, s[0:1], 0x0
	s_lshl_b64 s[26:27], s[24:25], 3
	v_dual_mov_b32 v4, 0 :: v_dual_and_b32 v3, 15, v0
	v_xor_b32_e32 v5, 8, v2
	v_xor_b32_e32 v6, 4, v2
	;; [unrolled: 1-line block ×4, first 2 shown]
	s_mov_b32 s3, 0
	v_cmp_gt_i32_e32 vcc_lo, 32, v5
	v_mul_lo_u32 v0, s16, v1
	s_mov_b32 s17, s3
	v_mul_lo_u32 v11, s16, v3
	s_wait_alu 0xfffe
	s_mul_u64 s[22:23], s[16:17], s[16:17]
	v_cndmask_b32_e32 v5, v2, v5, vcc_lo
	s_wait_kmcnt 0x0
	s_add_nc_u64 s[4:5], s[4:5], s[26:27]
	s_add_nc_u64 s[26:27], s[6:7], s[26:27]
	s_cmp_eq_u64 s[6:7], 0
	s_add_nc_u64 s[6:7], s[4:5], 8
	v_cmp_gt_i32_e32 vcc_lo, 32, v6
	s_cselect_b32 s7, s7, s27
	s_cselect_b32 s6, s6, s26
	s_load_b64 s[26:27], s[4:5], 0x0
	s_load_b64 s[28:29], s[6:7], 0x0
	s_cmp_lg_u32 s13, 0
	v_cndmask_b32_e32 v6, v2, v6, vcc_lo
	v_cmp_gt_i32_e32 vcc_lo, 32, v7
	s_cselect_b32 s13, -1, 0
	s_cmp_eq_f32 s14, 0
	v_cmp_gt_u32_e64 s0, s16, v3
	v_cmp_eq_u32_e64 s1, 15, v3
	s_wait_alu 0xfffd
	v_cndmask_b32_e32 v7, v2, v7, vcc_lo
	v_cmp_gt_i32_e32 vcc_lo, 32, v8
	v_lshlrev_b32_e32 v13, 2, v6
	s_cselect_b32 s15, -1, 0
	s_delay_alu instid0(VALU_DEP_3) | instskip(SKIP_3) | instid1(VALU_DEP_2)
	v_lshlrev_b32_e32 v14, 2, v7
	s_wait_alu 0xfffd
	v_cndmask_b32_e32 v2, v2, v8, vcc_lo
	v_lshlrev_b32_e32 v12, 2, v5
	v_lshlrev_b32_e32 v15, 2, v2
	s_wait_kmcnt 0x0
	v_cmp_lt_i64_e64 s17, s[26:27], s[28:29]
	s_sub_nc_u64 s[4:5], s[26:27], s[2:3]
	s_sub_nc_u64 s[6:7], s[28:29], s[2:3]
	s_mul_i32 s28, s24, s16
	s_mul_u64 s[24:25], s[4:5], s[22:23]
	s_lshl_b32 s29, s16, 4
	s_branch .LBB58_11
.LBB58_10:                              ;   in Loop: Header=BB58_11 Depth=1
	s_wait_alu 0xfffe
	s_or_b32 exec_lo, exec_lo, s26
	v_add_nc_u32_e32 v1, 16, v1
	v_add_nc_u32_e32 v0, s29, v0
	s_delay_alu instid0(VALU_DEP_2) | instskip(SKIP_1) | instid1(SALU_CYCLE_1)
	v_cmp_le_i32_e32 vcc_lo, s16, v1
	s_or_b32 s3, vcc_lo, s3
	s_and_not1_b32 exec_lo, exec_lo, s3
	s_cbranch_execz .LBB58_27
.LBB58_11:                              ; =>This Loop Header: Depth=1
                                        ;     Child Loop BB58_15 Depth 2
                                        ;       Child Loop BB58_18 Depth 3
	v_mov_b32_e32 v16, 0
	s_and_not1_b32 vcc_lo, exec_lo, s17
	s_wait_alu 0xfffe
	s_cbranch_vccnz .LBB58_22
; %bb.12:                               ;   in Loop: Header=BB58_11 Depth=1
	s_wait_dscnt 0x0
	v_ashrrev_i32_e32 v5, 31, v0
	v_add_co_u32 v17, vcc_lo, s24, v0
	v_ashrrev_i32_e32 v2, 31, v1
	v_mov_b32_e32 v16, 0
	s_wait_alu 0xfffd
	v_add_co_ci_u32_e64 v18, null, s25, v5, vcc_lo
	s_mov_b64 s[26:27], s[4:5]
	s_branch .LBB58_15
.LBB58_13:                              ;   in Loop: Header=BB58_15 Depth=2
	s_or_b32 exec_lo, exec_lo, s31
.LBB58_14:                              ;   in Loop: Header=BB58_15 Depth=2
	s_delay_alu instid0(SALU_CYCLE_1)
	s_or_b32 exec_lo, exec_lo, s30
	s_wait_alu 0xfffe
	s_add_nc_u64 s[26:27], s[26:27], 1
	v_add_co_u32 v17, vcc_lo, v17, s22
	s_wait_alu 0xfffe
	v_cmp_ge_i64_e64 s30, s[26:27], s[6:7]
	s_wait_alu 0xfffd
	v_add_co_ci_u32_e64 v18, null, s23, v18, vcc_lo
	s_and_b32 vcc_lo, exec_lo, s30
	s_wait_alu 0xfffe
	s_cbranch_vccnz .LBB58_22
.LBB58_15:                              ;   Parent Loop BB58_11 Depth=1
                                        ; =>  This Loop Header: Depth=2
                                        ;       Child Loop BB58_18 Depth 3
	s_and_saveexec_b32 s30, s0
	s_cbranch_execz .LBB58_14
; %bb.16:                               ;   in Loop: Header=BB58_15 Depth=2
	s_wait_alu 0xfffe
	s_lshl_b64 s[34:35], s[26:27], 2
	v_mad_co_u64_u32 v[5:6], null, s22, s26, v[1:2]
	s_wait_alu 0xfffe
	s_add_nc_u64 s[34:35], s[8:9], s[34:35]
	s_mul_i32 s33, s23, s26
	s_load_b32 s31, s[34:35], 0x0
	s_mul_i32 s34, s22, s27
	v_dual_mov_b32 v19, v11 :: v_dual_mov_b32 v8, v4
	v_mov_b32_e32 v7, v3
	s_wait_alu 0xfffe
	v_add3_u32 v6, s34, s33, v6
	s_wait_kmcnt 0x0
	s_sub_co_i32 s31, s31, s2
	s_delay_alu instid0(SALU_CYCLE_1)
	s_mul_i32 s33, s31, s16
	s_mov_b32 s31, 0
	s_branch .LBB58_18
.LBB58_17:                              ;   in Loop: Header=BB58_18 Depth=3
	v_add_nc_u32_e32 v20, s33, v7
	s_delay_alu instid0(VALU_DEP_2) | instskip(SKIP_1) | instid1(VALU_DEP_3)
	v_lshlrev_b64_e32 v[9:10], 1, v[9:10]
	v_add_nc_u32_e32 v19, s29, v19
	v_ashrrev_i32_e32 v21, 31, v20
	s_delay_alu instid0(VALU_DEP_3) | instskip(SKIP_1) | instid1(VALU_DEP_4)
	v_add_co_u32 v9, vcc_lo, s10, v9
	s_wait_alu 0xfffd
	v_add_co_ci_u32_e64 v10, null, s11, v10, vcc_lo
	s_delay_alu instid0(VALU_DEP_3) | instskip(NEXT) | instid1(VALU_DEP_1)
	v_lshlrev_b64_e32 v[20:21], 1, v[20:21]
	v_add_co_u32 v20, vcc_lo, s20, v20
	s_wait_alu 0xfffd
	s_delay_alu instid0(VALU_DEP_2)
	v_add_co_ci_u32_e64 v21, null, s21, v21, vcc_lo
	v_add_co_u32 v7, vcc_lo, v7, 16
	global_load_u16 v9, v[9:10], off
	global_load_u16 v10, v[20:21], off
	s_wait_alu 0xfffd
	v_add_co_ci_u32_e64 v8, null, 0, v8, vcc_lo
	v_cmp_le_i32_e32 vcc_lo, s16, v7
	s_or_b32 s31, vcc_lo, s31
	s_wait_loadcnt 0x0
	v_fma_mix_f32 v16, v9, v10, v16 op_sel_hi:[1,1,0]
	s_and_not1_b32 exec_lo, exec_lo, s31
	s_cbranch_execz .LBB58_13
.LBB58_18:                              ;   Parent Loop BB58_11 Depth=1
                                        ;     Parent Loop BB58_15 Depth=2
                                        ; =>    This Inner Loop Header: Depth=3
	s_and_b32 vcc_lo, exec_lo, s13
	s_wait_alu 0xfffe
	s_cbranch_vccz .LBB58_20
; %bb.19:                               ;   in Loop: Header=BB58_18 Depth=3
	v_ashrrev_i32_e32 v10, 31, v19
	v_add_co_u32 v9, vcc_lo, v5, v19
	s_wait_alu 0xfffd
	s_delay_alu instid0(VALU_DEP_2)
	v_add_co_ci_u32_e64 v10, null, v6, v10, vcc_lo
	s_cbranch_execnz .LBB58_17
	s_branch .LBB58_21
.LBB58_20:                              ;   in Loop: Header=BB58_18 Depth=3
                                        ; implicit-def: $vgpr9_vgpr10
.LBB58_21:                              ;   in Loop: Header=BB58_18 Depth=3
	v_add_co_u32 v9, vcc_lo, v17, v7
	s_wait_alu 0xfffd
	v_add_co_ci_u32_e64 v10, null, v18, v8, vcc_lo
	s_branch .LBB58_17
.LBB58_22:                              ;   in Loop: Header=BB58_11 Depth=1
	ds_bpermute_b32 v2, v12, v16
	s_wait_dscnt 0x0
	v_add_f32_e32 v2, v16, v2
	ds_bpermute_b32 v5, v13, v2
	s_wait_dscnt 0x0
	v_add_f32_e32 v2, v2, v5
	;; [unrolled: 3-line block ×3, first 2 shown]
	ds_bpermute_b32 v5, v15, v2
	s_and_saveexec_b32 s26, s1
	s_cbranch_execz .LBB58_10
; %bb.23:                               ;   in Loop: Header=BB58_11 Depth=1
	s_wait_dscnt 0x0
	v_add_f32_e32 v2, v2, v5
	v_add_nc_u32_e32 v5, s28, v1
	s_and_b32 vcc_lo, exec_lo, s15
	s_delay_alu instid0(VALU_DEP_2) | instskip(NEXT) | instid1(VALU_DEP_2)
	v_mul_f32_e32 v2, s12, v2
	v_ashrrev_i32_e32 v6, 31, v5
	s_wait_alu 0xfffe
	s_cbranch_vccz .LBB58_25
; %bb.24:                               ;   in Loop: Header=BB58_11 Depth=1
	s_delay_alu instid0(VALU_DEP_1) | instskip(NEXT) | instid1(VALU_DEP_1)
	v_lshlrev_b64_e32 v[7:8], 2, v[5:6]
	v_add_co_u32 v7, vcc_lo, s18, v7
	s_wait_alu 0xfffd
	s_delay_alu instid0(VALU_DEP_2)
	v_add_co_ci_u32_e64 v8, null, s19, v8, vcc_lo
	global_store_b32 v[7:8], v2, off
	s_cbranch_execnz .LBB58_10
	s_branch .LBB58_26
.LBB58_25:                              ;   in Loop: Header=BB58_11 Depth=1
.LBB58_26:                              ;   in Loop: Header=BB58_11 Depth=1
	s_delay_alu instid0(VALU_DEP_1) | instskip(NEXT) | instid1(VALU_DEP_1)
	v_lshlrev_b64_e32 v[5:6], 2, v[5:6]
	v_add_co_u32 v5, vcc_lo, s18, v5
	s_wait_alu 0xfffd
	s_delay_alu instid0(VALU_DEP_2)
	v_add_co_ci_u32_e64 v6, null, s19, v6, vcc_lo
	global_load_b32 v7, v[5:6], off
	s_wait_loadcnt 0x0
	v_fmac_f32_e32 v2, s14, v7
	global_store_b32 v[5:6], v2, off
	s_branch .LBB58_10
.LBB58_27:
	s_endpgm
	.section	.rodata,"a",@progbits
	.p2align	6, 0x0
	.amdhsa_kernel _ZN9rocsparseL22bsrxmvn_general_kernelILj256ELj16EfliDF16_DF16_fEEv20rocsparse_direction_NS_24const_host_device_scalarIT1_EET3_PKS5_PKT2_SA_S7_PKT4_S5_PKT5_S4_PT6_21rocsparse_index_base_b
		.amdhsa_group_segment_fixed_size 0
		.amdhsa_private_segment_fixed_size 0
		.amdhsa_kernarg_size 104
		.amdhsa_user_sgpr_count 2
		.amdhsa_user_sgpr_dispatch_ptr 0
		.amdhsa_user_sgpr_queue_ptr 0
		.amdhsa_user_sgpr_kernarg_segment_ptr 1
		.amdhsa_user_sgpr_dispatch_id 0
		.amdhsa_user_sgpr_private_segment_size 0
		.amdhsa_wavefront_size32 1
		.amdhsa_uses_dynamic_stack 0
		.amdhsa_enable_private_segment 0
		.amdhsa_system_sgpr_workgroup_id_x 1
		.amdhsa_system_sgpr_workgroup_id_y 0
		.amdhsa_system_sgpr_workgroup_id_z 0
		.amdhsa_system_sgpr_workgroup_info 0
		.amdhsa_system_vgpr_workitem_id 0
		.amdhsa_next_free_vgpr 22
		.amdhsa_next_free_sgpr 36
		.amdhsa_reserve_vcc 1
		.amdhsa_float_round_mode_32 0
		.amdhsa_float_round_mode_16_64 0
		.amdhsa_float_denorm_mode_32 3
		.amdhsa_float_denorm_mode_16_64 3
		.amdhsa_fp16_overflow 0
		.amdhsa_workgroup_processor_mode 1
		.amdhsa_memory_ordered 1
		.amdhsa_forward_progress 1
		.amdhsa_inst_pref_size 10
		.amdhsa_round_robin_scheduling 0
		.amdhsa_exception_fp_ieee_invalid_op 0
		.amdhsa_exception_fp_denorm_src 0
		.amdhsa_exception_fp_ieee_div_zero 0
		.amdhsa_exception_fp_ieee_overflow 0
		.amdhsa_exception_fp_ieee_underflow 0
		.amdhsa_exception_fp_ieee_inexact 0
		.amdhsa_exception_int_div_zero 0
	.end_amdhsa_kernel
	.section	.text._ZN9rocsparseL22bsrxmvn_general_kernelILj256ELj16EfliDF16_DF16_fEEv20rocsparse_direction_NS_24const_host_device_scalarIT1_EET3_PKS5_PKT2_SA_S7_PKT4_S5_PKT5_S4_PT6_21rocsparse_index_base_b,"axG",@progbits,_ZN9rocsparseL22bsrxmvn_general_kernelILj256ELj16EfliDF16_DF16_fEEv20rocsparse_direction_NS_24const_host_device_scalarIT1_EET3_PKS5_PKT2_SA_S7_PKT4_S5_PKT5_S4_PT6_21rocsparse_index_base_b,comdat
.Lfunc_end58:
	.size	_ZN9rocsparseL22bsrxmvn_general_kernelILj256ELj16EfliDF16_DF16_fEEv20rocsparse_direction_NS_24const_host_device_scalarIT1_EET3_PKS5_PKT2_SA_S7_PKT4_S5_PKT5_S4_PT6_21rocsparse_index_base_b, .Lfunc_end58-_ZN9rocsparseL22bsrxmvn_general_kernelILj256ELj16EfliDF16_DF16_fEEv20rocsparse_direction_NS_24const_host_device_scalarIT1_EET3_PKS5_PKT2_SA_S7_PKT4_S5_PKT5_S4_PT6_21rocsparse_index_base_b
                                        ; -- End function
	.set _ZN9rocsparseL22bsrxmvn_general_kernelILj256ELj16EfliDF16_DF16_fEEv20rocsparse_direction_NS_24const_host_device_scalarIT1_EET3_PKS5_PKT2_SA_S7_PKT4_S5_PKT5_S4_PT6_21rocsparse_index_base_b.num_vgpr, 22
	.set _ZN9rocsparseL22bsrxmvn_general_kernelILj256ELj16EfliDF16_DF16_fEEv20rocsparse_direction_NS_24const_host_device_scalarIT1_EET3_PKS5_PKT2_SA_S7_PKT4_S5_PKT5_S4_PT6_21rocsparse_index_base_b.num_agpr, 0
	.set _ZN9rocsparseL22bsrxmvn_general_kernelILj256ELj16EfliDF16_DF16_fEEv20rocsparse_direction_NS_24const_host_device_scalarIT1_EET3_PKS5_PKT2_SA_S7_PKT4_S5_PKT5_S4_PT6_21rocsparse_index_base_b.numbered_sgpr, 36
	.set _ZN9rocsparseL22bsrxmvn_general_kernelILj256ELj16EfliDF16_DF16_fEEv20rocsparse_direction_NS_24const_host_device_scalarIT1_EET3_PKS5_PKT2_SA_S7_PKT4_S5_PKT5_S4_PT6_21rocsparse_index_base_b.num_named_barrier, 0
	.set _ZN9rocsparseL22bsrxmvn_general_kernelILj256ELj16EfliDF16_DF16_fEEv20rocsparse_direction_NS_24const_host_device_scalarIT1_EET3_PKS5_PKT2_SA_S7_PKT4_S5_PKT5_S4_PT6_21rocsparse_index_base_b.private_seg_size, 0
	.set _ZN9rocsparseL22bsrxmvn_general_kernelILj256ELj16EfliDF16_DF16_fEEv20rocsparse_direction_NS_24const_host_device_scalarIT1_EET3_PKS5_PKT2_SA_S7_PKT4_S5_PKT5_S4_PT6_21rocsparse_index_base_b.uses_vcc, 1
	.set _ZN9rocsparseL22bsrxmvn_general_kernelILj256ELj16EfliDF16_DF16_fEEv20rocsparse_direction_NS_24const_host_device_scalarIT1_EET3_PKS5_PKT2_SA_S7_PKT4_S5_PKT5_S4_PT6_21rocsparse_index_base_b.uses_flat_scratch, 0
	.set _ZN9rocsparseL22bsrxmvn_general_kernelILj256ELj16EfliDF16_DF16_fEEv20rocsparse_direction_NS_24const_host_device_scalarIT1_EET3_PKS5_PKT2_SA_S7_PKT4_S5_PKT5_S4_PT6_21rocsparse_index_base_b.has_dyn_sized_stack, 0
	.set _ZN9rocsparseL22bsrxmvn_general_kernelILj256ELj16EfliDF16_DF16_fEEv20rocsparse_direction_NS_24const_host_device_scalarIT1_EET3_PKS5_PKT2_SA_S7_PKT4_S5_PKT5_S4_PT6_21rocsparse_index_base_b.has_recursion, 0
	.set _ZN9rocsparseL22bsrxmvn_general_kernelILj256ELj16EfliDF16_DF16_fEEv20rocsparse_direction_NS_24const_host_device_scalarIT1_EET3_PKS5_PKT2_SA_S7_PKT4_S5_PKT5_S4_PT6_21rocsparse_index_base_b.has_indirect_call, 0
	.section	.AMDGPU.csdata,"",@progbits
; Kernel info:
; codeLenInByte = 1196
; TotalNumSgprs: 38
; NumVgprs: 22
; ScratchSize: 0
; MemoryBound: 0
; FloatMode: 240
; IeeeMode: 1
; LDSByteSize: 0 bytes/workgroup (compile time only)
; SGPRBlocks: 0
; VGPRBlocks: 2
; NumSGPRsForWavesPerEU: 38
; NumVGPRsForWavesPerEU: 22
; Occupancy: 16
; WaveLimiterHint : 1
; COMPUTE_PGM_RSRC2:SCRATCH_EN: 0
; COMPUTE_PGM_RSRC2:USER_SGPR: 2
; COMPUTE_PGM_RSRC2:TRAP_HANDLER: 0
; COMPUTE_PGM_RSRC2:TGID_X_EN: 1
; COMPUTE_PGM_RSRC2:TGID_Y_EN: 0
; COMPUTE_PGM_RSRC2:TGID_Z_EN: 0
; COMPUTE_PGM_RSRC2:TIDIG_COMP_CNT: 0
	.section	.text._ZN9rocsparseL22bsrxmvn_general_kernelILj1024ELj32EfliDF16_DF16_fEEv20rocsparse_direction_NS_24const_host_device_scalarIT1_EET3_PKS5_PKT2_SA_S7_PKT4_S5_PKT5_S4_PT6_21rocsparse_index_base_b,"axG",@progbits,_ZN9rocsparseL22bsrxmvn_general_kernelILj1024ELj32EfliDF16_DF16_fEEv20rocsparse_direction_NS_24const_host_device_scalarIT1_EET3_PKS5_PKT2_SA_S7_PKT4_S5_PKT5_S4_PT6_21rocsparse_index_base_b,comdat
	.globl	_ZN9rocsparseL22bsrxmvn_general_kernelILj1024ELj32EfliDF16_DF16_fEEv20rocsparse_direction_NS_24const_host_device_scalarIT1_EET3_PKS5_PKT2_SA_S7_PKT4_S5_PKT5_S4_PT6_21rocsparse_index_base_b ; -- Begin function _ZN9rocsparseL22bsrxmvn_general_kernelILj1024ELj32EfliDF16_DF16_fEEv20rocsparse_direction_NS_24const_host_device_scalarIT1_EET3_PKS5_PKT2_SA_S7_PKT4_S5_PKT5_S4_PT6_21rocsparse_index_base_b
	.p2align	8
	.type	_ZN9rocsparseL22bsrxmvn_general_kernelILj1024ELj32EfliDF16_DF16_fEEv20rocsparse_direction_NS_24const_host_device_scalarIT1_EET3_PKS5_PKT2_SA_S7_PKT4_S5_PKT5_S4_PT6_21rocsparse_index_base_b,@function
_ZN9rocsparseL22bsrxmvn_general_kernelILj1024ELj32EfliDF16_DF16_fEEv20rocsparse_direction_NS_24const_host_device_scalarIT1_EET3_PKS5_PKT2_SA_S7_PKT4_S5_PKT5_S4_PT6_21rocsparse_index_base_b: ; @_ZN9rocsparseL22bsrxmvn_general_kernelILj1024ELj32EfliDF16_DF16_fEEv20rocsparse_direction_NS_24const_host_device_scalarIT1_EET3_PKS5_PKT2_SA_S7_PKT4_S5_PKT5_S4_PT6_21rocsparse_index_base_b
; %bb.0:
	s_clause 0x2
	s_load_b64 s[2:3], s[0:1], 0x60
	s_load_b64 s[12:13], s[0:1], 0x8
	s_load_b64 s[14:15], s[0:1], 0x50
	s_wait_kmcnt 0x0
	s_bitcmp1_b32 s3, 0
	s_cselect_b32 s3, -1, 0
	s_delay_alu instid0(SALU_CYCLE_1)
	s_and_b32 vcc_lo, exec_lo, s3
	s_xor_b32 s3, s3, -1
	s_cbranch_vccnz .LBB59_2
; %bb.1:
	s_load_b32 s12, s[12:13], 0x0
.LBB59_2:
	s_and_not1_b32 vcc_lo, exec_lo, s3
	s_cbranch_vccnz .LBB59_4
; %bb.3:
	s_load_b32 s14, s[14:15], 0x0
.LBB59_4:
	s_wait_kmcnt 0x0
	s_cmp_neq_f32 s12, 0
	s_cselect_b32 s3, -1, 0
	s_cmp_neq_f32 s14, 1.0
	s_cselect_b32 s4, -1, 0
	s_delay_alu instid0(SALU_CYCLE_1) | instskip(NEXT) | instid1(SALU_CYCLE_1)
	s_or_b32 s3, s3, s4
	s_and_not1_b32 vcc_lo, exec_lo, s3
	s_cbranch_vccnz .LBB59_27
; %bb.5:
	s_load_b64 s[4:5], s[0:1], 0x18
	s_wait_kmcnt 0x0
	s_cmp_eq_u64 s[4:5], 0
	s_cbranch_scc1 .LBB59_7
; %bb.6:
	s_mov_b32 s6, ttmp9
	s_ashr_i32 s7, ttmp9, 31
	s_delay_alu instid0(SALU_CYCLE_1) | instskip(NEXT) | instid1(SALU_CYCLE_1)
	s_lshl_b64 s[6:7], s[6:7], 2
	s_add_nc_u64 s[4:5], s[4:5], s[6:7]
	s_load_b32 s3, s[4:5], 0x0
	s_wait_kmcnt 0x0
	s_sub_co_i32 s24, s3, s2
	s_branch .LBB59_8
.LBB59_7:
	s_mov_b32 s24, ttmp9
.LBB59_8:
	s_load_b32 s16, s[0:1], 0x40
	v_lshrrev_b32_e32 v1, 5, v0
	s_mov_b32 s3, exec_lo
	s_wait_kmcnt 0x0
	s_delay_alu instid0(VALU_DEP_1)
	v_cmpx_gt_i32_e64 s16, v1
	s_cbranch_execz .LBB59_27
; %bb.9:
	s_clause 0x2
	s_load_b256 s[4:11], s[0:1], 0x20
	s_load_b64 s[18:19], s[0:1], 0x58
	s_load_b64 s[20:21], s[0:1], 0x48
	v_dual_mov_b32 v2, 0 :: v_dual_and_b32 v3, 31, v0
	v_mbcnt_lo_u32_b32 v0, -1, 0
	s_ashr_i32 s25, s24, 31
	s_load_b32 s13, s[0:1], 0x0
	s_lshl_b64 s[26:27], s[24:25], 3
	s_mov_b32 s3, 0
	v_xor_b32_e32 v4, 16, v0
	v_xor_b32_e32 v5, 8, v0
	;; [unrolled: 1-line block ×5, first 2 shown]
	v_cmp_gt_i32_e32 vcc_lo, 32, v4
	s_mov_b32 s17, s3
	v_mul_lo_u32 v15, s16, v1
	v_mul_lo_u32 v16, s16, v3
	s_wait_alu 0xfffe
	s_mul_u64 s[22:23], s[16:17], s[16:17]
	s_wait_kmcnt 0x0
	s_add_nc_u64 s[4:5], s[4:5], s[26:27]
	v_cndmask_b32_e32 v4, v0, v4, vcc_lo
	v_cmp_gt_i32_e32 vcc_lo, 32, v5
	s_add_nc_u64 s[26:27], s[6:7], s[26:27]
	s_cmp_eq_u64 s[6:7], 0
	s_add_nc_u64 s[6:7], s[4:5], 8
	v_cmp_gt_u32_e64 s0, s16, v3
	s_cselect_b32 s7, s7, s27
	s_cselect_b32 s6, s6, s26
	s_load_b64 s[26:27], s[4:5], 0x0
	s_load_b64 s[28:29], s[6:7], 0x0
	v_cndmask_b32_e32 v5, v0, v5, vcc_lo
	v_cmp_gt_i32_e32 vcc_lo, 32, v6
	s_cmp_lg_u32 s13, 0
	v_cmp_eq_u32_e64 s1, 31, v3
	s_cselect_b32 s13, -1, 0
	s_cmp_eq_f32 s14, 0
	s_wait_alu 0xfffd
	v_cndmask_b32_e32 v6, v0, v6, vcc_lo
	v_cmp_gt_i32_e32 vcc_lo, 32, v7
	v_lshlrev_b32_e32 v11, 2, v5
	s_cselect_b32 s15, -1, 0
	s_wait_alu 0xfffd
	v_cndmask_b32_e32 v7, v0, v7, vcc_lo
	v_cmp_gt_i32_e32 vcc_lo, 32, v8
	s_wait_alu 0xfffd
	s_delay_alu instid0(VALU_DEP_2)
	v_dual_cndmask_b32 v8, v0, v8 :: v_dual_lshlrev_b32 v13, 2, v7
	s_wait_kmcnt 0x0
	v_cmp_lt_i64_e64 s17, s[26:27], s[28:29]
	v_lshlrev_b32_e32 v0, 2, v4
	v_lshlrev_b32_e32 v12, 2, v6
	v_mov_b32_e32 v4, v2
	v_lshlrev_b32_e32 v14, 2, v8
	s_sub_nc_u64 s[4:5], s[26:27], s[2:3]
	s_sub_nc_u64 s[6:7], s[28:29], s[2:3]
	s_mul_i32 s28, s24, s16
	s_mul_u64 s[24:25], s[4:5], s[22:23]
	s_lshl_b32 s29, s16, 5
	s_branch .LBB59_11
.LBB59_10:                              ;   in Loop: Header=BB59_11 Depth=1
	s_wait_alu 0xfffe
	s_or_b32 exec_lo, exec_lo, s26
	v_add_nc_u32_e32 v1, 32, v1
	v_add_nc_u32_e32 v15, s29, v15
	s_delay_alu instid0(VALU_DEP_2) | instskip(SKIP_1) | instid1(SALU_CYCLE_1)
	v_cmp_le_i32_e32 vcc_lo, s16, v1
	s_or_b32 s3, vcc_lo, s3
	s_and_not1_b32 exec_lo, exec_lo, s3
	s_cbranch_execz .LBB59_27
.LBB59_11:                              ; =>This Loop Header: Depth=1
                                        ;     Child Loop BB59_15 Depth 2
                                        ;       Child Loop BB59_18 Depth 3
	v_mov_b32_e32 v17, 0
	s_and_not1_b32 vcc_lo, exec_lo, s17
	s_wait_alu 0xfffe
	s_cbranch_vccnz .LBB59_22
; %bb.12:                               ;   in Loop: Header=BB59_11 Depth=1
	v_ashrrev_i32_e32 v5, 31, v15
	v_add_co_u32 v18, vcc_lo, s24, v15
	v_mov_b32_e32 v17, 0
	s_mov_b64 s[26:27], s[4:5]
	s_wait_alu 0xfffd
	v_add_co_ci_u32_e64 v19, null, s25, v5, vcc_lo
	s_branch .LBB59_15
.LBB59_13:                              ;   in Loop: Header=BB59_15 Depth=2
	s_or_b32 exec_lo, exec_lo, s31
.LBB59_14:                              ;   in Loop: Header=BB59_15 Depth=2
	s_delay_alu instid0(SALU_CYCLE_1)
	s_or_b32 exec_lo, exec_lo, s30
	s_wait_alu 0xfffe
	s_add_nc_u64 s[26:27], s[26:27], 1
	v_add_co_u32 v18, vcc_lo, v18, s22
	s_wait_alu 0xfffe
	v_cmp_ge_i64_e64 s30, s[26:27], s[6:7]
	s_wait_alu 0xfffd
	v_add_co_ci_u32_e64 v19, null, s23, v19, vcc_lo
	s_and_b32 vcc_lo, exec_lo, s30
	s_wait_alu 0xfffe
	s_cbranch_vccnz .LBB59_22
.LBB59_15:                              ;   Parent Loop BB59_11 Depth=1
                                        ; =>  This Loop Header: Depth=2
                                        ;       Child Loop BB59_18 Depth 3
	s_and_saveexec_b32 s30, s0
	s_cbranch_execz .LBB59_14
; %bb.16:                               ;   in Loop: Header=BB59_15 Depth=2
	s_wait_alu 0xfffe
	s_lshl_b64 s[34:35], s[26:27], 2
	s_wait_dscnt 0x0
	v_mad_co_u64_u32 v[5:6], null, s22, s26, v[1:2]
	s_wait_alu 0xfffe
	s_add_nc_u64 s[34:35], s[8:9], s[34:35]
	s_mul_i32 s33, s23, s26
	s_load_b32 s31, s[34:35], 0x0
	s_mul_i32 s34, s22, s27
	v_mov_b32_e32 v8, v4
	v_dual_mov_b32 v20, v16 :: v_dual_mov_b32 v7, v3
	s_wait_alu 0xfffe
	v_add3_u32 v6, s34, s33, v6
	s_wait_kmcnt 0x0
	s_sub_co_i32 s31, s31, s2
	s_delay_alu instid0(SALU_CYCLE_1)
	s_mul_i32 s33, s31, s16
	s_mov_b32 s31, 0
	s_branch .LBB59_18
.LBB59_17:                              ;   in Loop: Header=BB59_18 Depth=3
	v_add_nc_u32_e32 v21, s33, v7
	s_delay_alu instid0(VALU_DEP_2) | instskip(SKIP_1) | instid1(VALU_DEP_3)
	v_lshlrev_b64_e32 v[9:10], 1, v[9:10]
	v_add_nc_u32_e32 v20, s29, v20
	v_ashrrev_i32_e32 v22, 31, v21
	s_delay_alu instid0(VALU_DEP_3) | instskip(SKIP_1) | instid1(VALU_DEP_4)
	v_add_co_u32 v9, vcc_lo, s10, v9
	s_wait_alu 0xfffd
	v_add_co_ci_u32_e64 v10, null, s11, v10, vcc_lo
	s_delay_alu instid0(VALU_DEP_3) | instskip(NEXT) | instid1(VALU_DEP_1)
	v_lshlrev_b64_e32 v[21:22], 1, v[21:22]
	v_add_co_u32 v21, vcc_lo, s20, v21
	s_wait_alu 0xfffd
	s_delay_alu instid0(VALU_DEP_2)
	v_add_co_ci_u32_e64 v22, null, s21, v22, vcc_lo
	v_add_co_u32 v7, vcc_lo, v7, 32
	global_load_u16 v9, v[9:10], off
	global_load_u16 v10, v[21:22], off
	s_wait_alu 0xfffd
	v_add_co_ci_u32_e64 v8, null, 0, v8, vcc_lo
	v_cmp_le_i32_e32 vcc_lo, s16, v7
	s_or_b32 s31, vcc_lo, s31
	s_wait_loadcnt 0x0
	v_fma_mix_f32 v17, v9, v10, v17 op_sel_hi:[1,1,0]
	s_and_not1_b32 exec_lo, exec_lo, s31
	s_cbranch_execz .LBB59_13
.LBB59_18:                              ;   Parent Loop BB59_11 Depth=1
                                        ;     Parent Loop BB59_15 Depth=2
                                        ; =>    This Inner Loop Header: Depth=3
	s_and_b32 vcc_lo, exec_lo, s13
	s_wait_alu 0xfffe
	s_cbranch_vccz .LBB59_20
; %bb.19:                               ;   in Loop: Header=BB59_18 Depth=3
	v_ashrrev_i32_e32 v10, 31, v20
	v_add_co_u32 v9, vcc_lo, v5, v20
	s_wait_alu 0xfffd
	s_delay_alu instid0(VALU_DEP_2)
	v_add_co_ci_u32_e64 v10, null, v6, v10, vcc_lo
	s_cbranch_execnz .LBB59_17
	s_branch .LBB59_21
.LBB59_20:                              ;   in Loop: Header=BB59_18 Depth=3
                                        ; implicit-def: $vgpr9_vgpr10
.LBB59_21:                              ;   in Loop: Header=BB59_18 Depth=3
	v_add_co_u32 v9, vcc_lo, v18, v7
	s_wait_alu 0xfffd
	v_add_co_ci_u32_e64 v10, null, v19, v8, vcc_lo
	s_branch .LBB59_17
.LBB59_22:                              ;   in Loop: Header=BB59_11 Depth=1
	ds_bpermute_b32 v5, v0, v17
	s_wait_dscnt 0x0
	v_add_f32_e32 v5, v17, v5
	ds_bpermute_b32 v6, v11, v5
	s_wait_dscnt 0x0
	v_add_f32_e32 v5, v5, v6
	;; [unrolled: 3-line block ×4, first 2 shown]
	ds_bpermute_b32 v6, v14, v5
	s_and_saveexec_b32 s26, s1
	s_cbranch_execz .LBB59_10
; %bb.23:                               ;   in Loop: Header=BB59_11 Depth=1
	s_wait_dscnt 0x0
	v_dual_add_f32 v6, v5, v6 :: v_dual_add_nc_u32 v5, s28, v1
	s_and_b32 vcc_lo, exec_lo, s15
	s_delay_alu instid0(VALU_DEP_1) | instskip(NEXT) | instid1(VALU_DEP_2)
	v_mul_f32_e32 v7, s12, v6
	v_ashrrev_i32_e32 v6, 31, v5
	s_wait_alu 0xfffe
	s_cbranch_vccz .LBB59_25
; %bb.24:                               ;   in Loop: Header=BB59_11 Depth=1
	s_delay_alu instid0(VALU_DEP_1) | instskip(NEXT) | instid1(VALU_DEP_1)
	v_lshlrev_b64_e32 v[8:9], 2, v[5:6]
	v_add_co_u32 v8, vcc_lo, s18, v8
	s_wait_alu 0xfffd
	s_delay_alu instid0(VALU_DEP_2)
	v_add_co_ci_u32_e64 v9, null, s19, v9, vcc_lo
	global_store_b32 v[8:9], v7, off
	s_cbranch_execnz .LBB59_10
	s_branch .LBB59_26
.LBB59_25:                              ;   in Loop: Header=BB59_11 Depth=1
.LBB59_26:                              ;   in Loop: Header=BB59_11 Depth=1
	s_delay_alu instid0(VALU_DEP_1) | instskip(NEXT) | instid1(VALU_DEP_1)
	v_lshlrev_b64_e32 v[5:6], 2, v[5:6]
	v_add_co_u32 v5, vcc_lo, s18, v5
	s_wait_alu 0xfffd
	s_delay_alu instid0(VALU_DEP_2)
	v_add_co_ci_u32_e64 v6, null, s19, v6, vcc_lo
	global_load_b32 v8, v[5:6], off
	s_wait_loadcnt 0x0
	v_fmac_f32_e32 v7, s14, v8
	global_store_b32 v[5:6], v7, off
	s_branch .LBB59_10
.LBB59_27:
	s_endpgm
	.section	.rodata,"a",@progbits
	.p2align	6, 0x0
	.amdhsa_kernel _ZN9rocsparseL22bsrxmvn_general_kernelILj1024ELj32EfliDF16_DF16_fEEv20rocsparse_direction_NS_24const_host_device_scalarIT1_EET3_PKS5_PKT2_SA_S7_PKT4_S5_PKT5_S4_PT6_21rocsparse_index_base_b
		.amdhsa_group_segment_fixed_size 0
		.amdhsa_private_segment_fixed_size 0
		.amdhsa_kernarg_size 104
		.amdhsa_user_sgpr_count 2
		.amdhsa_user_sgpr_dispatch_ptr 0
		.amdhsa_user_sgpr_queue_ptr 0
		.amdhsa_user_sgpr_kernarg_segment_ptr 1
		.amdhsa_user_sgpr_dispatch_id 0
		.amdhsa_user_sgpr_private_segment_size 0
		.amdhsa_wavefront_size32 1
		.amdhsa_uses_dynamic_stack 0
		.amdhsa_enable_private_segment 0
		.amdhsa_system_sgpr_workgroup_id_x 1
		.amdhsa_system_sgpr_workgroup_id_y 0
		.amdhsa_system_sgpr_workgroup_id_z 0
		.amdhsa_system_sgpr_workgroup_info 0
		.amdhsa_system_vgpr_workitem_id 0
		.amdhsa_next_free_vgpr 23
		.amdhsa_next_free_sgpr 36
		.amdhsa_reserve_vcc 1
		.amdhsa_float_round_mode_32 0
		.amdhsa_float_round_mode_16_64 0
		.amdhsa_float_denorm_mode_32 3
		.amdhsa_float_denorm_mode_16_64 3
		.amdhsa_fp16_overflow 0
		.amdhsa_workgroup_processor_mode 1
		.amdhsa_memory_ordered 1
		.amdhsa_forward_progress 1
		.amdhsa_inst_pref_size 10
		.amdhsa_round_robin_scheduling 0
		.amdhsa_exception_fp_ieee_invalid_op 0
		.amdhsa_exception_fp_denorm_src 0
		.amdhsa_exception_fp_ieee_div_zero 0
		.amdhsa_exception_fp_ieee_overflow 0
		.amdhsa_exception_fp_ieee_underflow 0
		.amdhsa_exception_fp_ieee_inexact 0
		.amdhsa_exception_int_div_zero 0
	.end_amdhsa_kernel
	.section	.text._ZN9rocsparseL22bsrxmvn_general_kernelILj1024ELj32EfliDF16_DF16_fEEv20rocsparse_direction_NS_24const_host_device_scalarIT1_EET3_PKS5_PKT2_SA_S7_PKT4_S5_PKT5_S4_PT6_21rocsparse_index_base_b,"axG",@progbits,_ZN9rocsparseL22bsrxmvn_general_kernelILj1024ELj32EfliDF16_DF16_fEEv20rocsparse_direction_NS_24const_host_device_scalarIT1_EET3_PKS5_PKT2_SA_S7_PKT4_S5_PKT5_S4_PT6_21rocsparse_index_base_b,comdat
.Lfunc_end59:
	.size	_ZN9rocsparseL22bsrxmvn_general_kernelILj1024ELj32EfliDF16_DF16_fEEv20rocsparse_direction_NS_24const_host_device_scalarIT1_EET3_PKS5_PKT2_SA_S7_PKT4_S5_PKT5_S4_PT6_21rocsparse_index_base_b, .Lfunc_end59-_ZN9rocsparseL22bsrxmvn_general_kernelILj1024ELj32EfliDF16_DF16_fEEv20rocsparse_direction_NS_24const_host_device_scalarIT1_EET3_PKS5_PKT2_SA_S7_PKT4_S5_PKT5_S4_PT6_21rocsparse_index_base_b
                                        ; -- End function
	.set _ZN9rocsparseL22bsrxmvn_general_kernelILj1024ELj32EfliDF16_DF16_fEEv20rocsparse_direction_NS_24const_host_device_scalarIT1_EET3_PKS5_PKT2_SA_S7_PKT4_S5_PKT5_S4_PT6_21rocsparse_index_base_b.num_vgpr, 23
	.set _ZN9rocsparseL22bsrxmvn_general_kernelILj1024ELj32EfliDF16_DF16_fEEv20rocsparse_direction_NS_24const_host_device_scalarIT1_EET3_PKS5_PKT2_SA_S7_PKT4_S5_PKT5_S4_PT6_21rocsparse_index_base_b.num_agpr, 0
	.set _ZN9rocsparseL22bsrxmvn_general_kernelILj1024ELj32EfliDF16_DF16_fEEv20rocsparse_direction_NS_24const_host_device_scalarIT1_EET3_PKS5_PKT2_SA_S7_PKT4_S5_PKT5_S4_PT6_21rocsparse_index_base_b.numbered_sgpr, 36
	.set _ZN9rocsparseL22bsrxmvn_general_kernelILj1024ELj32EfliDF16_DF16_fEEv20rocsparse_direction_NS_24const_host_device_scalarIT1_EET3_PKS5_PKT2_SA_S7_PKT4_S5_PKT5_S4_PT6_21rocsparse_index_base_b.num_named_barrier, 0
	.set _ZN9rocsparseL22bsrxmvn_general_kernelILj1024ELj32EfliDF16_DF16_fEEv20rocsparse_direction_NS_24const_host_device_scalarIT1_EET3_PKS5_PKT2_SA_S7_PKT4_S5_PKT5_S4_PT6_21rocsparse_index_base_b.private_seg_size, 0
	.set _ZN9rocsparseL22bsrxmvn_general_kernelILj1024ELj32EfliDF16_DF16_fEEv20rocsparse_direction_NS_24const_host_device_scalarIT1_EET3_PKS5_PKT2_SA_S7_PKT4_S5_PKT5_S4_PT6_21rocsparse_index_base_b.uses_vcc, 1
	.set _ZN9rocsparseL22bsrxmvn_general_kernelILj1024ELj32EfliDF16_DF16_fEEv20rocsparse_direction_NS_24const_host_device_scalarIT1_EET3_PKS5_PKT2_SA_S7_PKT4_S5_PKT5_S4_PT6_21rocsparse_index_base_b.uses_flat_scratch, 0
	.set _ZN9rocsparseL22bsrxmvn_general_kernelILj1024ELj32EfliDF16_DF16_fEEv20rocsparse_direction_NS_24const_host_device_scalarIT1_EET3_PKS5_PKT2_SA_S7_PKT4_S5_PKT5_S4_PT6_21rocsparse_index_base_b.has_dyn_sized_stack, 0
	.set _ZN9rocsparseL22bsrxmvn_general_kernelILj1024ELj32EfliDF16_DF16_fEEv20rocsparse_direction_NS_24const_host_device_scalarIT1_EET3_PKS5_PKT2_SA_S7_PKT4_S5_PKT5_S4_PT6_21rocsparse_index_base_b.has_recursion, 0
	.set _ZN9rocsparseL22bsrxmvn_general_kernelILj1024ELj32EfliDF16_DF16_fEEv20rocsparse_direction_NS_24const_host_device_scalarIT1_EET3_PKS5_PKT2_SA_S7_PKT4_S5_PKT5_S4_PT6_21rocsparse_index_base_b.has_indirect_call, 0
	.section	.AMDGPU.csdata,"",@progbits
; Kernel info:
; codeLenInByte = 1232
; TotalNumSgprs: 38
; NumVgprs: 23
; ScratchSize: 0
; MemoryBound: 0
; FloatMode: 240
; IeeeMode: 1
; LDSByteSize: 0 bytes/workgroup (compile time only)
; SGPRBlocks: 0
; VGPRBlocks: 2
; NumSGPRsForWavesPerEU: 38
; NumVGPRsForWavesPerEU: 23
; Occupancy: 16
; WaveLimiterHint : 1
; COMPUTE_PGM_RSRC2:SCRATCH_EN: 0
; COMPUTE_PGM_RSRC2:USER_SGPR: 2
; COMPUTE_PGM_RSRC2:TRAP_HANDLER: 0
; COMPUTE_PGM_RSRC2:TGID_X_EN: 1
; COMPUTE_PGM_RSRC2:TGID_Y_EN: 0
; COMPUTE_PGM_RSRC2:TGID_Z_EN: 0
; COMPUTE_PGM_RSRC2:TIDIG_COMP_CNT: 0
	.section	.text._ZN9rocsparseL22bsrxmvn_general_kernelILj64ELj8EfllDF16_DF16_fEEv20rocsparse_direction_NS_24const_host_device_scalarIT1_EET3_PKS5_PKT2_SA_S7_PKT4_S5_PKT5_S4_PT6_21rocsparse_index_base_b,"axG",@progbits,_ZN9rocsparseL22bsrxmvn_general_kernelILj64ELj8EfllDF16_DF16_fEEv20rocsparse_direction_NS_24const_host_device_scalarIT1_EET3_PKS5_PKT2_SA_S7_PKT4_S5_PKT5_S4_PT6_21rocsparse_index_base_b,comdat
	.globl	_ZN9rocsparseL22bsrxmvn_general_kernelILj64ELj8EfllDF16_DF16_fEEv20rocsparse_direction_NS_24const_host_device_scalarIT1_EET3_PKS5_PKT2_SA_S7_PKT4_S5_PKT5_S4_PT6_21rocsparse_index_base_b ; -- Begin function _ZN9rocsparseL22bsrxmvn_general_kernelILj64ELj8EfllDF16_DF16_fEEv20rocsparse_direction_NS_24const_host_device_scalarIT1_EET3_PKS5_PKT2_SA_S7_PKT4_S5_PKT5_S4_PT6_21rocsparse_index_base_b
	.p2align	8
	.type	_ZN9rocsparseL22bsrxmvn_general_kernelILj64ELj8EfllDF16_DF16_fEEv20rocsparse_direction_NS_24const_host_device_scalarIT1_EET3_PKS5_PKT2_SA_S7_PKT4_S5_PKT5_S4_PT6_21rocsparse_index_base_b,@function
_ZN9rocsparseL22bsrxmvn_general_kernelILj64ELj8EfllDF16_DF16_fEEv20rocsparse_direction_NS_24const_host_device_scalarIT1_EET3_PKS5_PKT2_SA_S7_PKT4_S5_PKT5_S4_PT6_21rocsparse_index_base_b: ; @_ZN9rocsparseL22bsrxmvn_general_kernelILj64ELj8EfllDF16_DF16_fEEv20rocsparse_direction_NS_24const_host_device_scalarIT1_EET3_PKS5_PKT2_SA_S7_PKT4_S5_PKT5_S4_PT6_21rocsparse_index_base_b
; %bb.0:
	s_clause 0x2
	s_load_b64 s[12:13], s[0:1], 0x60
	s_load_b64 s[14:15], s[0:1], 0x8
	;; [unrolled: 1-line block ×3, first 2 shown]
	s_wait_kmcnt 0x0
	s_bitcmp1_b32 s13, 0
	s_cselect_b32 s2, -1, 0
	s_delay_alu instid0(SALU_CYCLE_1)
	s_and_b32 vcc_lo, exec_lo, s2
	s_xor_b32 s2, s2, -1
	s_cbranch_vccnz .LBB60_2
; %bb.1:
	s_load_b32 s14, s[14:15], 0x0
.LBB60_2:
	s_and_not1_b32 vcc_lo, exec_lo, s2
	s_cbranch_vccnz .LBB60_4
; %bb.3:
	s_load_b32 s16, s[16:17], 0x0
.LBB60_4:
	s_wait_kmcnt 0x0
	s_cmp_neq_f32 s14, 0
	s_cselect_b32 s2, -1, 0
	s_cmp_neq_f32 s16, 1.0
	s_cselect_b32 s3, -1, 0
	s_delay_alu instid0(SALU_CYCLE_1)
	s_or_b32 s2, s2, s3
	s_mov_b32 s3, 0
	s_and_not1_b32 vcc_lo, exec_lo, s2
	s_cbranch_vccnz .LBB60_26
; %bb.5:
	s_load_b64 s[4:5], s[0:1], 0x18
	s_mov_b32 s2, ttmp9
	s_mov_b32 s13, s3
	s_wait_kmcnt 0x0
	s_cmp_eq_u64 s[4:5], 0
	s_cbranch_scc1 .LBB60_7
; %bb.6:
	s_lshl_b64 s[2:3], s[2:3], 3
	s_delay_alu instid0(SALU_CYCLE_1)
	s_add_nc_u64 s[2:3], s[4:5], s[2:3]
	s_load_b64 s[2:3], s[2:3], 0x0
	s_wait_kmcnt 0x0
	s_sub_nc_u64 s[2:3], s[2:3], s[12:13]
.LBB60_7:
	s_load_b64 s[18:19], s[0:1], 0x40
	v_lshrrev_b32_e32 v1, 3, v0
	v_mov_b32_e32 v2, 0
	s_mov_b32 s4, exec_lo
	s_wait_kmcnt 0x0
	s_delay_alu instid0(VALU_DEP_1)
	v_cmpx_gt_i64_e64 s[18:19], v[1:2]
	s_cbranch_execz .LBB60_26
; %bb.8:
	s_clause 0x2
	s_load_b256 s[4:11], s[0:1], 0x20
	s_load_b64 s[20:21], s[0:1], 0x48
	s_load_b64 s[22:23], s[0:1], 0x58
	s_lshl_b64 s[24:25], s[2:3], 3
	v_dual_mov_b32 v4, v2 :: v_dual_and_b32 v3, 7, v0
	v_mbcnt_lo_u32_b32 v0, -1, 0
	s_load_b32 s17, s[0:1], 0x0
	s_mul_u64 s[26:27], s[2:3], s[18:19]
	s_delay_alu instid0(VALU_DEP_2)
	v_cmp_eq_u32_e64 s1, 7, v3
	v_cmp_gt_u64_e64 s0, s[18:19], v[3:4]
	v_xor_b32_e32 v5, 4, v0
	v_xor_b32_e32 v6, 2, v0
	;; [unrolled: 1-line block ×3, first 2 shown]
	s_mov_b32 s15, 0
	s_delay_alu instid0(VALU_DEP_3)
	v_cmp_gt_i32_e32 vcc_lo, 32, v5
	v_lshlrev_b32_e32 v8, 1, v3
	s_wait_kmcnt 0x0
	s_add_nc_u64 s[4:5], s[4:5], s[24:25]
	v_cndmask_b32_e32 v5, v0, v5, vcc_lo
	s_load_b64 s[28:29], s[4:5], 0x0
	v_cmp_gt_i32_e32 vcc_lo, 32, v6
	s_add_nc_u64 s[2:3], s[6:7], s[24:25]
	s_cmp_eq_u64 s[6:7], 0
	s_add_nc_u64 s[4:5], s[4:5], 8
	s_wait_alu 0xfffd
	v_cndmask_b32_e32 v9, v0, v6, vcc_lo
	v_cmp_gt_i32_e32 vcc_lo, 32, v7
	s_cselect_b32 s3, s5, s3
	s_cselect_b32 s2, s4, s2
	s_cmp_lg_u32 s17, 0
	s_load_b64 s[24:25], s[2:3], 0x0
	v_dual_cndmask_b32 v7, v0, v7 :: v_dual_lshlrev_b32 v0, 2, v5
	v_lshlrev_b32_e32 v17, 2, v9
	s_cselect_b32 s3, -1, 0
	s_cmp_eq_f32 s16, 0
	s_delay_alu instid0(VALU_DEP_2) | instskip(SKIP_3) | instid1(SALU_CYCLE_1)
	v_lshlrev_b32_e32 v18, 2, v7
	s_cselect_b32 s17, -1, 0
	s_wait_kmcnt 0x0
	s_sub_nc_u64 s[4:5], s[28:29], s[12:13]
	v_mad_co_u64_u32 v[5:6], null, s18, s4, v[1:2]
	s_mul_i32 s2, s19, s4
	s_mul_i32 s6, s18, s5
	v_cmp_lt_i64_e64 s33, s[28:29], s[24:25]
	v_add3_u32 v7, s6, s2, v6
	v_mul_lo_u32 v9, s19, v5
	v_mad_co_u64_u32 v[5:6], null, s18, v5, 0
	s_lshl_b64 s[6:7], s[26:27], 2
	v_mul_lo_u32 v10, s18, v7
	v_add_co_u32 v7, s2, s20, v8
	s_wait_alu 0xf1ff
	v_add_co_ci_u32_e64 v8, null, s21, 0, s2
	s_wait_alu 0xfffe
	s_add_nc_u64 s[6:7], s[22:23], s[6:7]
	s_sub_nc_u64 s[20:21], s[24:25], s[12:13]
	s_lshl_b64 s[22:23], s[18:19], 1
	v_add3_u32 v6, v6, v10, v9
	s_lshl_b64 s[24:25], s[18:19], 3
	s_mul_u64 s[26:27], s[18:19], s[18:19]
	s_branch .LBB60_10
.LBB60_9:                               ;   in Loop: Header=BB60_10 Depth=1
	s_wait_alu 0xfffe
	s_or_b32 exec_lo, exec_lo, s2
	v_add_co_u32 v1, vcc_lo, v1, 8
	s_wait_alu 0xfffd
	v_add_co_ci_u32_e64 v2, null, 0, v2, vcc_lo
	v_add_co_u32 v5, s2, v5, s24
	s_wait_alu 0xf1ff
	v_add_co_ci_u32_e64 v6, null, s25, v6, s2
	s_delay_alu instid0(VALU_DEP_3)
	v_cmp_le_i64_e32 vcc_lo, s[18:19], v[1:2]
	s_or_b32 s15, vcc_lo, s15
	s_wait_alu 0xfffe
	s_and_not1_b32 exec_lo, exec_lo, s15
	s_cbranch_execz .LBB60_26
.LBB60_10:                              ; =>This Loop Header: Depth=1
                                        ;     Child Loop BB60_14 Depth 2
                                        ;       Child Loop BB60_17 Depth 3
	v_mov_b32_e32 v19, 0
	s_and_not1_b32 vcc_lo, exec_lo, s33
	s_wait_alu 0xfffe
	s_cbranch_vccnz .LBB60_21
; %bb.11:                               ;   in Loop: Header=BB60_10 Depth=1
	s_wait_dscnt 0x0
	v_dual_mov_b32 v19, 0 :: v_dual_mov_b32 v10, v6
	v_mov_b32_e32 v9, v5
	s_mov_b64 s[28:29], s[4:5]
	s_branch .LBB60_14
.LBB60_12:                              ;   in Loop: Header=BB60_14 Depth=2
	s_or_b32 exec_lo, exec_lo, s35
.LBB60_13:                              ;   in Loop: Header=BB60_14 Depth=2
	s_delay_alu instid0(SALU_CYCLE_1)
	s_or_b32 exec_lo, exec_lo, s34
	s_wait_alu 0xfffe
	s_add_nc_u64 s[28:29], s[28:29], 1
	v_add_co_u32 v9, vcc_lo, v9, s26
	s_wait_alu 0xfffe
	v_cmp_ge_i64_e64 s2, s[28:29], s[20:21]
	s_wait_alu 0xfffd
	v_add_co_ci_u32_e64 v10, null, s27, v10, vcc_lo
	s_and_b32 vcc_lo, exec_lo, s2
	s_wait_alu 0xfffe
	s_cbranch_vccnz .LBB60_21
.LBB60_14:                              ;   Parent Loop BB60_10 Depth=1
                                        ; =>  This Loop Header: Depth=2
                                        ;       Child Loop BB60_17 Depth 3
	s_and_saveexec_b32 s34, s0
	s_cbranch_execz .LBB60_13
; %bb.15:                               ;   in Loop: Header=BB60_14 Depth=2
	s_wait_alu 0xfffe
	s_lshl_b64 s[30:31], s[28:29], 3
	v_dual_mov_b32 v14, v4 :: v_dual_mov_b32 v13, v3
	s_wait_alu 0xfffe
	s_add_nc_u64 s[30:31], s[8:9], s[30:31]
	s_mov_b32 s35, 0
	s_load_b64 s[30:31], s[30:31], 0x0
	s_wait_kmcnt 0x0
	s_sub_nc_u64 s[30:31], s[30:31], s[12:13]
	s_wait_alu 0xfffe
	v_mad_co_u64_u32 v[11:12], null, s22, s30, v[7:8]
	s_mul_i32 s2, s23, s30
	s_mul_i32 s30, s22, s31
	s_wait_alu 0xfffe
	v_add3_u32 v12, s30, s2, v12
	s_mul_u64 s[30:31], s[28:29], s[18:19]
	s_branch .LBB60_17
.LBB60_16:                              ;   in Loop: Header=BB60_17 Depth=3
	s_delay_alu instid0(VALU_DEP_1) | instskip(NEXT) | instid1(VALU_DEP_1)
	v_lshlrev_b64_e32 v[15:16], 1, v[15:16]
	v_add_co_u32 v15, vcc_lo, s10, v15
	s_wait_alu 0xfffd
	s_delay_alu instid0(VALU_DEP_2)
	v_add_co_ci_u32_e64 v16, null, s11, v16, vcc_lo
	v_add_co_u32 v13, vcc_lo, v13, 8
	global_load_u16 v20, v[11:12], off
	global_load_u16 v15, v[15:16], off
	s_wait_alu 0xfffd
	v_add_co_ci_u32_e64 v14, null, 0, v14, vcc_lo
	v_add_co_u32 v11, s2, v11, 16
	s_wait_alu 0xf1ff
	v_add_co_ci_u32_e64 v12, null, 0, v12, s2
	s_delay_alu instid0(VALU_DEP_3)
	v_cmp_le_i64_e32 vcc_lo, s[18:19], v[13:14]
	s_or_b32 s35, vcc_lo, s35
	s_wait_loadcnt 0x0
	v_fma_mix_f32 v19, v15, v20, v19 op_sel_hi:[1,1,0]
	s_and_not1_b32 exec_lo, exec_lo, s35
	s_cbranch_execz .LBB60_12
.LBB60_17:                              ;   Parent Loop BB60_10 Depth=1
                                        ;     Parent Loop BB60_14 Depth=2
                                        ; =>    This Inner Loop Header: Depth=3
	s_and_b32 vcc_lo, exec_lo, s3
	s_wait_alu 0xfffe
	s_cbranch_vccz .LBB60_19
; %bb.18:                               ;   in Loop: Header=BB60_17 Depth=3
	v_add_co_u32 v15, vcc_lo, v13, s30
	s_wait_alu 0xfffd
	v_add_co_ci_u32_e64 v16, null, s31, v14, vcc_lo
	s_delay_alu instid0(VALU_DEP_2) | instskip(NEXT) | instid1(VALU_DEP_2)
	v_mul_lo_u32 v20, v15, s19
	v_mul_lo_u32 v21, v16, s18
	v_mad_co_u64_u32 v[15:16], null, v15, s18, v[1:2]
	s_delay_alu instid0(VALU_DEP_1)
	v_add3_u32 v16, v21, v16, v20
	s_cbranch_execnz .LBB60_16
	s_branch .LBB60_20
.LBB60_19:                              ;   in Loop: Header=BB60_17 Depth=3
                                        ; implicit-def: $vgpr15_vgpr16
.LBB60_20:                              ;   in Loop: Header=BB60_17 Depth=3
	v_add_co_u32 v15, vcc_lo, v9, v13
	s_wait_alu 0xfffd
	v_add_co_ci_u32_e64 v16, null, v10, v14, vcc_lo
	s_branch .LBB60_16
.LBB60_21:                              ;   in Loop: Header=BB60_10 Depth=1
	ds_bpermute_b32 v9, v0, v19
	s_wait_dscnt 0x0
	v_add_f32_e32 v9, v19, v9
	ds_bpermute_b32 v10, v17, v9
	s_wait_dscnt 0x0
	v_add_f32_e32 v9, v9, v10
	ds_bpermute_b32 v10, v18, v9
	s_and_saveexec_b32 s2, s1
	s_cbranch_execz .LBB60_9
; %bb.22:                               ;   in Loop: Header=BB60_10 Depth=1
	s_wait_dscnt 0x0
	v_add_f32_e32 v11, v9, v10
	v_lshlrev_b64_e32 v[9:10], 2, v[1:2]
	s_and_b32 vcc_lo, exec_lo, s17
	s_delay_alu instid0(VALU_DEP_2)
	v_mul_f32_e32 v11, s14, v11
	s_wait_alu 0xfffe
	s_cbranch_vccz .LBB60_24
; %bb.23:                               ;   in Loop: Header=BB60_10 Depth=1
	s_delay_alu instid0(VALU_DEP_2)
	v_add_co_u32 v12, vcc_lo, s6, v9
	s_wait_alu 0xfffd
	v_add_co_ci_u32_e64 v13, null, s7, v10, vcc_lo
	global_store_b32 v[12:13], v11, off
	s_cbranch_execnz .LBB60_9
	s_branch .LBB60_25
.LBB60_24:                              ;   in Loop: Header=BB60_10 Depth=1
.LBB60_25:                              ;   in Loop: Header=BB60_10 Depth=1
	s_delay_alu instid0(VALU_DEP_2)
	v_add_co_u32 v9, vcc_lo, s6, v9
	s_wait_alu 0xfffd
	v_add_co_ci_u32_e64 v10, null, s7, v10, vcc_lo
	global_load_b32 v12, v[9:10], off
	s_wait_loadcnt 0x0
	v_fmac_f32_e32 v11, s16, v12
	global_store_b32 v[9:10], v11, off
	s_branch .LBB60_9
.LBB60_26:
	s_endpgm
	.section	.rodata,"a",@progbits
	.p2align	6, 0x0
	.amdhsa_kernel _ZN9rocsparseL22bsrxmvn_general_kernelILj64ELj8EfllDF16_DF16_fEEv20rocsparse_direction_NS_24const_host_device_scalarIT1_EET3_PKS5_PKT2_SA_S7_PKT4_S5_PKT5_S4_PT6_21rocsparse_index_base_b
		.amdhsa_group_segment_fixed_size 0
		.amdhsa_private_segment_fixed_size 0
		.amdhsa_kernarg_size 104
		.amdhsa_user_sgpr_count 2
		.amdhsa_user_sgpr_dispatch_ptr 0
		.amdhsa_user_sgpr_queue_ptr 0
		.amdhsa_user_sgpr_kernarg_segment_ptr 1
		.amdhsa_user_sgpr_dispatch_id 0
		.amdhsa_user_sgpr_private_segment_size 0
		.amdhsa_wavefront_size32 1
		.amdhsa_uses_dynamic_stack 0
		.amdhsa_enable_private_segment 0
		.amdhsa_system_sgpr_workgroup_id_x 1
		.amdhsa_system_sgpr_workgroup_id_y 0
		.amdhsa_system_sgpr_workgroup_id_z 0
		.amdhsa_system_sgpr_workgroup_info 0
		.amdhsa_system_vgpr_workitem_id 0
		.amdhsa_next_free_vgpr 22
		.amdhsa_next_free_sgpr 36
		.amdhsa_reserve_vcc 1
		.amdhsa_float_round_mode_32 0
		.amdhsa_float_round_mode_16_64 0
		.amdhsa_float_denorm_mode_32 3
		.amdhsa_float_denorm_mode_16_64 3
		.amdhsa_fp16_overflow 0
		.amdhsa_workgroup_processor_mode 1
		.amdhsa_memory_ordered 1
		.amdhsa_forward_progress 1
		.amdhsa_inst_pref_size 10
		.amdhsa_round_robin_scheduling 0
		.amdhsa_exception_fp_ieee_invalid_op 0
		.amdhsa_exception_fp_denorm_src 0
		.amdhsa_exception_fp_ieee_div_zero 0
		.amdhsa_exception_fp_ieee_overflow 0
		.amdhsa_exception_fp_ieee_underflow 0
		.amdhsa_exception_fp_ieee_inexact 0
		.amdhsa_exception_int_div_zero 0
	.end_amdhsa_kernel
	.section	.text._ZN9rocsparseL22bsrxmvn_general_kernelILj64ELj8EfllDF16_DF16_fEEv20rocsparse_direction_NS_24const_host_device_scalarIT1_EET3_PKS5_PKT2_SA_S7_PKT4_S5_PKT5_S4_PT6_21rocsparse_index_base_b,"axG",@progbits,_ZN9rocsparseL22bsrxmvn_general_kernelILj64ELj8EfllDF16_DF16_fEEv20rocsparse_direction_NS_24const_host_device_scalarIT1_EET3_PKS5_PKT2_SA_S7_PKT4_S5_PKT5_S4_PT6_21rocsparse_index_base_b,comdat
.Lfunc_end60:
	.size	_ZN9rocsparseL22bsrxmvn_general_kernelILj64ELj8EfllDF16_DF16_fEEv20rocsparse_direction_NS_24const_host_device_scalarIT1_EET3_PKS5_PKT2_SA_S7_PKT4_S5_PKT5_S4_PT6_21rocsparse_index_base_b, .Lfunc_end60-_ZN9rocsparseL22bsrxmvn_general_kernelILj64ELj8EfllDF16_DF16_fEEv20rocsparse_direction_NS_24const_host_device_scalarIT1_EET3_PKS5_PKT2_SA_S7_PKT4_S5_PKT5_S4_PT6_21rocsparse_index_base_b
                                        ; -- End function
	.set _ZN9rocsparseL22bsrxmvn_general_kernelILj64ELj8EfllDF16_DF16_fEEv20rocsparse_direction_NS_24const_host_device_scalarIT1_EET3_PKS5_PKT2_SA_S7_PKT4_S5_PKT5_S4_PT6_21rocsparse_index_base_b.num_vgpr, 22
	.set _ZN9rocsparseL22bsrxmvn_general_kernelILj64ELj8EfllDF16_DF16_fEEv20rocsparse_direction_NS_24const_host_device_scalarIT1_EET3_PKS5_PKT2_SA_S7_PKT4_S5_PKT5_S4_PT6_21rocsparse_index_base_b.num_agpr, 0
	.set _ZN9rocsparseL22bsrxmvn_general_kernelILj64ELj8EfllDF16_DF16_fEEv20rocsparse_direction_NS_24const_host_device_scalarIT1_EET3_PKS5_PKT2_SA_S7_PKT4_S5_PKT5_S4_PT6_21rocsparse_index_base_b.numbered_sgpr, 36
	.set _ZN9rocsparseL22bsrxmvn_general_kernelILj64ELj8EfllDF16_DF16_fEEv20rocsparse_direction_NS_24const_host_device_scalarIT1_EET3_PKS5_PKT2_SA_S7_PKT4_S5_PKT5_S4_PT6_21rocsparse_index_base_b.num_named_barrier, 0
	.set _ZN9rocsparseL22bsrxmvn_general_kernelILj64ELj8EfllDF16_DF16_fEEv20rocsparse_direction_NS_24const_host_device_scalarIT1_EET3_PKS5_PKT2_SA_S7_PKT4_S5_PKT5_S4_PT6_21rocsparse_index_base_b.private_seg_size, 0
	.set _ZN9rocsparseL22bsrxmvn_general_kernelILj64ELj8EfllDF16_DF16_fEEv20rocsparse_direction_NS_24const_host_device_scalarIT1_EET3_PKS5_PKT2_SA_S7_PKT4_S5_PKT5_S4_PT6_21rocsparse_index_base_b.uses_vcc, 1
	.set _ZN9rocsparseL22bsrxmvn_general_kernelILj64ELj8EfllDF16_DF16_fEEv20rocsparse_direction_NS_24const_host_device_scalarIT1_EET3_PKS5_PKT2_SA_S7_PKT4_S5_PKT5_S4_PT6_21rocsparse_index_base_b.uses_flat_scratch, 0
	.set _ZN9rocsparseL22bsrxmvn_general_kernelILj64ELj8EfllDF16_DF16_fEEv20rocsparse_direction_NS_24const_host_device_scalarIT1_EET3_PKS5_PKT2_SA_S7_PKT4_S5_PKT5_S4_PT6_21rocsparse_index_base_b.has_dyn_sized_stack, 0
	.set _ZN9rocsparseL22bsrxmvn_general_kernelILj64ELj8EfllDF16_DF16_fEEv20rocsparse_direction_NS_24const_host_device_scalarIT1_EET3_PKS5_PKT2_SA_S7_PKT4_S5_PKT5_S4_PT6_21rocsparse_index_base_b.has_recursion, 0
	.set _ZN9rocsparseL22bsrxmvn_general_kernelILj64ELj8EfllDF16_DF16_fEEv20rocsparse_direction_NS_24const_host_device_scalarIT1_EET3_PKS5_PKT2_SA_S7_PKT4_S5_PKT5_S4_PT6_21rocsparse_index_base_b.has_indirect_call, 0
	.section	.AMDGPU.csdata,"",@progbits
; Kernel info:
; codeLenInByte = 1236
; TotalNumSgprs: 38
; NumVgprs: 22
; ScratchSize: 0
; MemoryBound: 0
; FloatMode: 240
; IeeeMode: 1
; LDSByteSize: 0 bytes/workgroup (compile time only)
; SGPRBlocks: 0
; VGPRBlocks: 2
; NumSGPRsForWavesPerEU: 38
; NumVGPRsForWavesPerEU: 22
; Occupancy: 16
; WaveLimiterHint : 0
; COMPUTE_PGM_RSRC2:SCRATCH_EN: 0
; COMPUTE_PGM_RSRC2:USER_SGPR: 2
; COMPUTE_PGM_RSRC2:TRAP_HANDLER: 0
; COMPUTE_PGM_RSRC2:TGID_X_EN: 1
; COMPUTE_PGM_RSRC2:TGID_Y_EN: 0
; COMPUTE_PGM_RSRC2:TGID_Z_EN: 0
; COMPUTE_PGM_RSRC2:TIDIG_COMP_CNT: 0
	.section	.text._ZN9rocsparseL22bsrxmvn_general_kernelILj256ELj16EfllDF16_DF16_fEEv20rocsparse_direction_NS_24const_host_device_scalarIT1_EET3_PKS5_PKT2_SA_S7_PKT4_S5_PKT5_S4_PT6_21rocsparse_index_base_b,"axG",@progbits,_ZN9rocsparseL22bsrxmvn_general_kernelILj256ELj16EfllDF16_DF16_fEEv20rocsparse_direction_NS_24const_host_device_scalarIT1_EET3_PKS5_PKT2_SA_S7_PKT4_S5_PKT5_S4_PT6_21rocsparse_index_base_b,comdat
	.globl	_ZN9rocsparseL22bsrxmvn_general_kernelILj256ELj16EfllDF16_DF16_fEEv20rocsparse_direction_NS_24const_host_device_scalarIT1_EET3_PKS5_PKT2_SA_S7_PKT4_S5_PKT5_S4_PT6_21rocsparse_index_base_b ; -- Begin function _ZN9rocsparseL22bsrxmvn_general_kernelILj256ELj16EfllDF16_DF16_fEEv20rocsparse_direction_NS_24const_host_device_scalarIT1_EET3_PKS5_PKT2_SA_S7_PKT4_S5_PKT5_S4_PT6_21rocsparse_index_base_b
	.p2align	8
	.type	_ZN9rocsparseL22bsrxmvn_general_kernelILj256ELj16EfllDF16_DF16_fEEv20rocsparse_direction_NS_24const_host_device_scalarIT1_EET3_PKS5_PKT2_SA_S7_PKT4_S5_PKT5_S4_PT6_21rocsparse_index_base_b,@function
_ZN9rocsparseL22bsrxmvn_general_kernelILj256ELj16EfllDF16_DF16_fEEv20rocsparse_direction_NS_24const_host_device_scalarIT1_EET3_PKS5_PKT2_SA_S7_PKT4_S5_PKT5_S4_PT6_21rocsparse_index_base_b: ; @_ZN9rocsparseL22bsrxmvn_general_kernelILj256ELj16EfllDF16_DF16_fEEv20rocsparse_direction_NS_24const_host_device_scalarIT1_EET3_PKS5_PKT2_SA_S7_PKT4_S5_PKT5_S4_PT6_21rocsparse_index_base_b
; %bb.0:
	s_clause 0x2
	s_load_b64 s[12:13], s[0:1], 0x60
	s_load_b64 s[14:15], s[0:1], 0x8
	;; [unrolled: 1-line block ×3, first 2 shown]
	s_wait_kmcnt 0x0
	s_bitcmp1_b32 s13, 0
	s_cselect_b32 s2, -1, 0
	s_delay_alu instid0(SALU_CYCLE_1)
	s_and_b32 vcc_lo, exec_lo, s2
	s_xor_b32 s2, s2, -1
	s_cbranch_vccnz .LBB61_2
; %bb.1:
	s_load_b32 s14, s[14:15], 0x0
.LBB61_2:
	s_and_not1_b32 vcc_lo, exec_lo, s2
	s_cbranch_vccnz .LBB61_4
; %bb.3:
	s_load_b32 s16, s[16:17], 0x0
.LBB61_4:
	s_wait_kmcnt 0x0
	s_cmp_neq_f32 s14, 0
	s_cselect_b32 s2, -1, 0
	s_cmp_neq_f32 s16, 1.0
	s_cselect_b32 s3, -1, 0
	s_delay_alu instid0(SALU_CYCLE_1)
	s_or_b32 s2, s2, s3
	s_mov_b32 s3, 0
	s_and_not1_b32 vcc_lo, exec_lo, s2
	s_cbranch_vccnz .LBB61_26
; %bb.5:
	s_load_b64 s[4:5], s[0:1], 0x18
	s_mov_b32 s2, ttmp9
	s_mov_b32 s13, s3
	s_wait_kmcnt 0x0
	s_cmp_eq_u64 s[4:5], 0
	s_cbranch_scc1 .LBB61_7
; %bb.6:
	s_lshl_b64 s[2:3], s[2:3], 3
	s_delay_alu instid0(SALU_CYCLE_1)
	s_add_nc_u64 s[2:3], s[4:5], s[2:3]
	s_load_b64 s[2:3], s[2:3], 0x0
	s_wait_kmcnt 0x0
	s_sub_nc_u64 s[2:3], s[2:3], s[12:13]
.LBB61_7:
	s_load_b64 s[18:19], s[0:1], 0x40
	v_lshrrev_b32_e32 v1, 4, v0
	v_mov_b32_e32 v2, 0
	s_mov_b32 s4, exec_lo
	s_wait_kmcnt 0x0
	s_delay_alu instid0(VALU_DEP_1)
	v_cmpx_gt_i64_e64 s[18:19], v[1:2]
	s_cbranch_execz .LBB61_26
; %bb.8:
	s_clause 0x2
	s_load_b256 s[4:11], s[0:1], 0x20
	s_load_b64 s[20:21], s[0:1], 0x48
	s_load_b64 s[22:23], s[0:1], 0x58
	v_dual_mov_b32 v4, v2 :: v_dual_and_b32 v3, 15, v0
	v_mbcnt_lo_u32_b32 v0, -1, 0
	s_lshl_b64 s[24:25], s[2:3], 3
	s_mul_u64 s[26:27], s[2:3], s[18:19]
	s_load_b32 s17, s[0:1], 0x0
	v_cmp_gt_u64_e64 s0, s[18:19], v[3:4]
	v_xor_b32_e32 v5, 8, v0
	v_xor_b32_e32 v6, 4, v0
	;; [unrolled: 1-line block ×4, first 2 shown]
	v_cmp_eq_u32_e64 s1, 15, v3
	v_cmp_gt_i32_e32 vcc_lo, 32, v5
	s_mov_b32 s15, 0
	v_cndmask_b32_e32 v5, v0, v5, vcc_lo
	s_wait_kmcnt 0x0
	s_add_nc_u64 s[2:3], s[4:5], s[24:25]
	v_cmp_gt_i32_e32 vcc_lo, 32, v6
	s_load_b64 s[28:29], s[2:3], 0x0
	v_lshlrev_b32_e32 v9, 1, v3
	s_add_nc_u64 s[4:5], s[6:7], s[24:25]
	s_cmp_eq_u64 s[6:7], 0
	v_cndmask_b32_e32 v6, v0, v6, vcc_lo
	v_cmp_gt_i32_e32 vcc_lo, 32, v7
	s_add_nc_u64 s[2:3], s[2:3], 8
	s_delay_alu instid0(SALU_CYCLE_1)
	s_cselect_b32 s3, s3, s5
	s_cselect_b32 s2, s2, s4
	s_wait_alu 0xfffd
	v_cndmask_b32_e32 v7, v0, v7, vcc_lo
	v_cmp_gt_i32_e32 vcc_lo, 32, v8
	v_lshlrev_b32_e32 v17, 2, v6
	s_load_b64 s[24:25], s[2:3], 0x0
	s_cmp_lg_u32 s17, 0
	v_lshlrev_b32_e32 v18, 2, v7
	v_cndmask_b32_e32 v8, v0, v8, vcc_lo
	v_lshlrev_b32_e32 v0, 2, v5
	s_cselect_b32 s3, -1, 0
	s_cmp_eq_f32 s16, 0
	s_wait_kmcnt 0x0
	s_sub_nc_u64 s[4:5], s[28:29], s[12:13]
	v_lshlrev_b32_e32 v19, 2, v8
	v_mad_co_u64_u32 v[5:6], null, s18, s4, v[1:2]
	s_mul_i32 s2, s19, s4
	s_mul_i32 s6, s18, s5
	s_cselect_b32 s17, -1, 0
	v_add3_u32 v7, s6, s2, v6
	v_mul_lo_u32 v10, s19, v5
	v_mad_co_u64_u32 v[5:6], null, s18, v5, 0
	v_cmp_lt_i64_e64 s33, s[28:29], s[24:25]
	s_delay_alu instid0(VALU_DEP_4)
	v_mul_lo_u32 v11, s18, v7
	v_add_co_u32 v7, s2, s20, v9
	s_wait_alu 0xf1ff
	v_add_co_ci_u32_e64 v8, null, s21, 0, s2
	s_lshl_b64 s[6:7], s[26:27], 2
	s_sub_nc_u64 s[20:21], s[24:25], s[12:13]
	s_wait_alu 0xfffe
	s_add_nc_u64 s[6:7], s[22:23], s[6:7]
	v_add3_u32 v6, v6, v11, v10
	s_lshl_b64 s[22:23], s[18:19], 1
	s_lshl_b64 s[24:25], s[18:19], 4
	s_mul_u64 s[26:27], s[18:19], s[18:19]
	s_branch .LBB61_10
.LBB61_9:                               ;   in Loop: Header=BB61_10 Depth=1
	s_wait_alu 0xfffe
	s_or_b32 exec_lo, exec_lo, s2
	v_add_co_u32 v1, vcc_lo, v1, 16
	s_wait_alu 0xfffd
	v_add_co_ci_u32_e64 v2, null, 0, v2, vcc_lo
	v_add_co_u32 v5, s2, v5, s24
	s_wait_alu 0xf1ff
	v_add_co_ci_u32_e64 v6, null, s25, v6, s2
	s_delay_alu instid0(VALU_DEP_3)
	v_cmp_le_i64_e32 vcc_lo, s[18:19], v[1:2]
	s_or_b32 s15, vcc_lo, s15
	s_wait_alu 0xfffe
	s_and_not1_b32 exec_lo, exec_lo, s15
	s_cbranch_execz .LBB61_26
.LBB61_10:                              ; =>This Loop Header: Depth=1
                                        ;     Child Loop BB61_14 Depth 2
                                        ;       Child Loop BB61_17 Depth 3
	v_mov_b32_e32 v20, 0
	s_and_not1_b32 vcc_lo, exec_lo, s33
	s_wait_alu 0xfffe
	s_cbranch_vccnz .LBB61_21
; %bb.11:                               ;   in Loop: Header=BB61_10 Depth=1
	s_wait_dscnt 0x0
	v_mov_b32_e32 v10, v6
	v_dual_mov_b32 v20, 0 :: v_dual_mov_b32 v9, v5
	s_mov_b64 s[28:29], s[4:5]
	s_branch .LBB61_14
.LBB61_12:                              ;   in Loop: Header=BB61_14 Depth=2
	s_or_b32 exec_lo, exec_lo, s35
.LBB61_13:                              ;   in Loop: Header=BB61_14 Depth=2
	s_delay_alu instid0(SALU_CYCLE_1)
	s_or_b32 exec_lo, exec_lo, s34
	s_wait_alu 0xfffe
	s_add_nc_u64 s[28:29], s[28:29], 1
	v_add_co_u32 v9, vcc_lo, v9, s26
	s_wait_alu 0xfffe
	v_cmp_ge_i64_e64 s2, s[28:29], s[20:21]
	s_wait_alu 0xfffd
	v_add_co_ci_u32_e64 v10, null, s27, v10, vcc_lo
	s_and_b32 vcc_lo, exec_lo, s2
	s_wait_alu 0xfffe
	s_cbranch_vccnz .LBB61_21
.LBB61_14:                              ;   Parent Loop BB61_10 Depth=1
                                        ; =>  This Loop Header: Depth=2
                                        ;       Child Loop BB61_17 Depth 3
	s_and_saveexec_b32 s34, s0
	s_cbranch_execz .LBB61_13
; %bb.15:                               ;   in Loop: Header=BB61_14 Depth=2
	s_wait_alu 0xfffe
	s_lshl_b64 s[30:31], s[28:29], 3
	v_dual_mov_b32 v14, v4 :: v_dual_mov_b32 v13, v3
	s_wait_alu 0xfffe
	s_add_nc_u64 s[30:31], s[8:9], s[30:31]
	s_mov_b32 s35, 0
	s_load_b64 s[30:31], s[30:31], 0x0
	s_wait_kmcnt 0x0
	s_sub_nc_u64 s[30:31], s[30:31], s[12:13]
	s_wait_alu 0xfffe
	v_mad_co_u64_u32 v[11:12], null, s22, s30, v[7:8]
	s_mul_i32 s2, s23, s30
	s_mul_i32 s30, s22, s31
	s_wait_alu 0xfffe
	v_add3_u32 v12, s30, s2, v12
	s_mul_u64 s[30:31], s[28:29], s[18:19]
	s_branch .LBB61_17
.LBB61_16:                              ;   in Loop: Header=BB61_17 Depth=3
	s_delay_alu instid0(VALU_DEP_1) | instskip(NEXT) | instid1(VALU_DEP_1)
	v_lshlrev_b64_e32 v[15:16], 1, v[15:16]
	v_add_co_u32 v15, vcc_lo, s10, v15
	s_wait_alu 0xfffd
	s_delay_alu instid0(VALU_DEP_2)
	v_add_co_ci_u32_e64 v16, null, s11, v16, vcc_lo
	v_add_co_u32 v13, vcc_lo, v13, 16
	global_load_u16 v21, v[11:12], off
	global_load_u16 v15, v[15:16], off
	s_wait_alu 0xfffd
	v_add_co_ci_u32_e64 v14, null, 0, v14, vcc_lo
	v_add_co_u32 v11, s2, v11, 32
	s_wait_alu 0xf1ff
	v_add_co_ci_u32_e64 v12, null, 0, v12, s2
	s_delay_alu instid0(VALU_DEP_3)
	v_cmp_le_i64_e32 vcc_lo, s[18:19], v[13:14]
	s_or_b32 s35, vcc_lo, s35
	s_wait_loadcnt 0x0
	v_fma_mix_f32 v20, v15, v21, v20 op_sel_hi:[1,1,0]
	s_and_not1_b32 exec_lo, exec_lo, s35
	s_cbranch_execz .LBB61_12
.LBB61_17:                              ;   Parent Loop BB61_10 Depth=1
                                        ;     Parent Loop BB61_14 Depth=2
                                        ; =>    This Inner Loop Header: Depth=3
	s_and_b32 vcc_lo, exec_lo, s3
	s_wait_alu 0xfffe
	s_cbranch_vccz .LBB61_19
; %bb.18:                               ;   in Loop: Header=BB61_17 Depth=3
	v_add_co_u32 v15, vcc_lo, v13, s30
	s_wait_alu 0xfffd
	v_add_co_ci_u32_e64 v16, null, s31, v14, vcc_lo
	s_delay_alu instid0(VALU_DEP_2) | instskip(NEXT) | instid1(VALU_DEP_2)
	v_mul_lo_u32 v21, v15, s19
	v_mul_lo_u32 v22, v16, s18
	v_mad_co_u64_u32 v[15:16], null, v15, s18, v[1:2]
	s_delay_alu instid0(VALU_DEP_1)
	v_add3_u32 v16, v22, v16, v21
	s_cbranch_execnz .LBB61_16
	s_branch .LBB61_20
.LBB61_19:                              ;   in Loop: Header=BB61_17 Depth=3
                                        ; implicit-def: $vgpr15_vgpr16
.LBB61_20:                              ;   in Loop: Header=BB61_17 Depth=3
	v_add_co_u32 v15, vcc_lo, v9, v13
	s_wait_alu 0xfffd
	v_add_co_ci_u32_e64 v16, null, v10, v14, vcc_lo
	s_branch .LBB61_16
.LBB61_21:                              ;   in Loop: Header=BB61_10 Depth=1
	ds_bpermute_b32 v9, v0, v20
	s_wait_dscnt 0x0
	v_add_f32_e32 v9, v20, v9
	ds_bpermute_b32 v10, v17, v9
	s_wait_dscnt 0x0
	v_add_f32_e32 v9, v9, v10
	;; [unrolled: 3-line block ×3, first 2 shown]
	ds_bpermute_b32 v10, v19, v9
	s_and_saveexec_b32 s2, s1
	s_cbranch_execz .LBB61_9
; %bb.22:                               ;   in Loop: Header=BB61_10 Depth=1
	s_wait_dscnt 0x0
	v_add_f32_e32 v11, v9, v10
	v_lshlrev_b64_e32 v[9:10], 2, v[1:2]
	s_and_b32 vcc_lo, exec_lo, s17
	s_delay_alu instid0(VALU_DEP_2)
	v_mul_f32_e32 v11, s14, v11
	s_wait_alu 0xfffe
	s_cbranch_vccz .LBB61_24
; %bb.23:                               ;   in Loop: Header=BB61_10 Depth=1
	s_delay_alu instid0(VALU_DEP_2)
	v_add_co_u32 v12, vcc_lo, s6, v9
	s_wait_alu 0xfffd
	v_add_co_ci_u32_e64 v13, null, s7, v10, vcc_lo
	global_store_b32 v[12:13], v11, off
	s_cbranch_execnz .LBB61_9
	s_branch .LBB61_25
.LBB61_24:                              ;   in Loop: Header=BB61_10 Depth=1
.LBB61_25:                              ;   in Loop: Header=BB61_10 Depth=1
	s_delay_alu instid0(VALU_DEP_2)
	v_add_co_u32 v9, vcc_lo, s6, v9
	s_wait_alu 0xfffd
	v_add_co_ci_u32_e64 v10, null, s7, v10, vcc_lo
	global_load_b32 v12, v[9:10], off
	s_wait_loadcnt 0x0
	v_fmac_f32_e32 v11, s16, v12
	global_store_b32 v[9:10], v11, off
	s_branch .LBB61_9
.LBB61_26:
	s_endpgm
	.section	.rodata,"a",@progbits
	.p2align	6, 0x0
	.amdhsa_kernel _ZN9rocsparseL22bsrxmvn_general_kernelILj256ELj16EfllDF16_DF16_fEEv20rocsparse_direction_NS_24const_host_device_scalarIT1_EET3_PKS5_PKT2_SA_S7_PKT4_S5_PKT5_S4_PT6_21rocsparse_index_base_b
		.amdhsa_group_segment_fixed_size 0
		.amdhsa_private_segment_fixed_size 0
		.amdhsa_kernarg_size 104
		.amdhsa_user_sgpr_count 2
		.amdhsa_user_sgpr_dispatch_ptr 0
		.amdhsa_user_sgpr_queue_ptr 0
		.amdhsa_user_sgpr_kernarg_segment_ptr 1
		.amdhsa_user_sgpr_dispatch_id 0
		.amdhsa_user_sgpr_private_segment_size 0
		.amdhsa_wavefront_size32 1
		.amdhsa_uses_dynamic_stack 0
		.amdhsa_enable_private_segment 0
		.amdhsa_system_sgpr_workgroup_id_x 1
		.amdhsa_system_sgpr_workgroup_id_y 0
		.amdhsa_system_sgpr_workgroup_id_z 0
		.amdhsa_system_sgpr_workgroup_info 0
		.amdhsa_system_vgpr_workitem_id 0
		.amdhsa_next_free_vgpr 23
		.amdhsa_next_free_sgpr 36
		.amdhsa_reserve_vcc 1
		.amdhsa_float_round_mode_32 0
		.amdhsa_float_round_mode_16_64 0
		.amdhsa_float_denorm_mode_32 3
		.amdhsa_float_denorm_mode_16_64 3
		.amdhsa_fp16_overflow 0
		.amdhsa_workgroup_processor_mode 1
		.amdhsa_memory_ordered 1
		.amdhsa_forward_progress 1
		.amdhsa_inst_pref_size 10
		.amdhsa_round_robin_scheduling 0
		.amdhsa_exception_fp_ieee_invalid_op 0
		.amdhsa_exception_fp_denorm_src 0
		.amdhsa_exception_fp_ieee_div_zero 0
		.amdhsa_exception_fp_ieee_overflow 0
		.amdhsa_exception_fp_ieee_underflow 0
		.amdhsa_exception_fp_ieee_inexact 0
		.amdhsa_exception_int_div_zero 0
	.end_amdhsa_kernel
	.section	.text._ZN9rocsparseL22bsrxmvn_general_kernelILj256ELj16EfllDF16_DF16_fEEv20rocsparse_direction_NS_24const_host_device_scalarIT1_EET3_PKS5_PKT2_SA_S7_PKT4_S5_PKT5_S4_PT6_21rocsparse_index_base_b,"axG",@progbits,_ZN9rocsparseL22bsrxmvn_general_kernelILj256ELj16EfllDF16_DF16_fEEv20rocsparse_direction_NS_24const_host_device_scalarIT1_EET3_PKS5_PKT2_SA_S7_PKT4_S5_PKT5_S4_PT6_21rocsparse_index_base_b,comdat
.Lfunc_end61:
	.size	_ZN9rocsparseL22bsrxmvn_general_kernelILj256ELj16EfllDF16_DF16_fEEv20rocsparse_direction_NS_24const_host_device_scalarIT1_EET3_PKS5_PKT2_SA_S7_PKT4_S5_PKT5_S4_PT6_21rocsparse_index_base_b, .Lfunc_end61-_ZN9rocsparseL22bsrxmvn_general_kernelILj256ELj16EfllDF16_DF16_fEEv20rocsparse_direction_NS_24const_host_device_scalarIT1_EET3_PKS5_PKT2_SA_S7_PKT4_S5_PKT5_S4_PT6_21rocsparse_index_base_b
                                        ; -- End function
	.set _ZN9rocsparseL22bsrxmvn_general_kernelILj256ELj16EfllDF16_DF16_fEEv20rocsparse_direction_NS_24const_host_device_scalarIT1_EET3_PKS5_PKT2_SA_S7_PKT4_S5_PKT5_S4_PT6_21rocsparse_index_base_b.num_vgpr, 23
	.set _ZN9rocsparseL22bsrxmvn_general_kernelILj256ELj16EfllDF16_DF16_fEEv20rocsparse_direction_NS_24const_host_device_scalarIT1_EET3_PKS5_PKT2_SA_S7_PKT4_S5_PKT5_S4_PT6_21rocsparse_index_base_b.num_agpr, 0
	.set _ZN9rocsparseL22bsrxmvn_general_kernelILj256ELj16EfllDF16_DF16_fEEv20rocsparse_direction_NS_24const_host_device_scalarIT1_EET3_PKS5_PKT2_SA_S7_PKT4_S5_PKT5_S4_PT6_21rocsparse_index_base_b.numbered_sgpr, 36
	.set _ZN9rocsparseL22bsrxmvn_general_kernelILj256ELj16EfllDF16_DF16_fEEv20rocsparse_direction_NS_24const_host_device_scalarIT1_EET3_PKS5_PKT2_SA_S7_PKT4_S5_PKT5_S4_PT6_21rocsparse_index_base_b.num_named_barrier, 0
	.set _ZN9rocsparseL22bsrxmvn_general_kernelILj256ELj16EfllDF16_DF16_fEEv20rocsparse_direction_NS_24const_host_device_scalarIT1_EET3_PKS5_PKT2_SA_S7_PKT4_S5_PKT5_S4_PT6_21rocsparse_index_base_b.private_seg_size, 0
	.set _ZN9rocsparseL22bsrxmvn_general_kernelILj256ELj16EfllDF16_DF16_fEEv20rocsparse_direction_NS_24const_host_device_scalarIT1_EET3_PKS5_PKT2_SA_S7_PKT4_S5_PKT5_S4_PT6_21rocsparse_index_base_b.uses_vcc, 1
	.set _ZN9rocsparseL22bsrxmvn_general_kernelILj256ELj16EfllDF16_DF16_fEEv20rocsparse_direction_NS_24const_host_device_scalarIT1_EET3_PKS5_PKT2_SA_S7_PKT4_S5_PKT5_S4_PT6_21rocsparse_index_base_b.uses_flat_scratch, 0
	.set _ZN9rocsparseL22bsrxmvn_general_kernelILj256ELj16EfllDF16_DF16_fEEv20rocsparse_direction_NS_24const_host_device_scalarIT1_EET3_PKS5_PKT2_SA_S7_PKT4_S5_PKT5_S4_PT6_21rocsparse_index_base_b.has_dyn_sized_stack, 0
	.set _ZN9rocsparseL22bsrxmvn_general_kernelILj256ELj16EfllDF16_DF16_fEEv20rocsparse_direction_NS_24const_host_device_scalarIT1_EET3_PKS5_PKT2_SA_S7_PKT4_S5_PKT5_S4_PT6_21rocsparse_index_base_b.has_recursion, 0
	.set _ZN9rocsparseL22bsrxmvn_general_kernelILj256ELj16EfllDF16_DF16_fEEv20rocsparse_direction_NS_24const_host_device_scalarIT1_EET3_PKS5_PKT2_SA_S7_PKT4_S5_PKT5_S4_PT6_21rocsparse_index_base_b.has_indirect_call, 0
	.section	.AMDGPU.csdata,"",@progbits
; Kernel info:
; codeLenInByte = 1264
; TotalNumSgprs: 38
; NumVgprs: 23
; ScratchSize: 0
; MemoryBound: 0
; FloatMode: 240
; IeeeMode: 1
; LDSByteSize: 0 bytes/workgroup (compile time only)
; SGPRBlocks: 0
; VGPRBlocks: 2
; NumSGPRsForWavesPerEU: 38
; NumVGPRsForWavesPerEU: 23
; Occupancy: 16
; WaveLimiterHint : 0
; COMPUTE_PGM_RSRC2:SCRATCH_EN: 0
; COMPUTE_PGM_RSRC2:USER_SGPR: 2
; COMPUTE_PGM_RSRC2:TRAP_HANDLER: 0
; COMPUTE_PGM_RSRC2:TGID_X_EN: 1
; COMPUTE_PGM_RSRC2:TGID_Y_EN: 0
; COMPUTE_PGM_RSRC2:TGID_Z_EN: 0
; COMPUTE_PGM_RSRC2:TIDIG_COMP_CNT: 0
	.section	.text._ZN9rocsparseL22bsrxmvn_general_kernelILj1024ELj32EfllDF16_DF16_fEEv20rocsparse_direction_NS_24const_host_device_scalarIT1_EET3_PKS5_PKT2_SA_S7_PKT4_S5_PKT5_S4_PT6_21rocsparse_index_base_b,"axG",@progbits,_ZN9rocsparseL22bsrxmvn_general_kernelILj1024ELj32EfllDF16_DF16_fEEv20rocsparse_direction_NS_24const_host_device_scalarIT1_EET3_PKS5_PKT2_SA_S7_PKT4_S5_PKT5_S4_PT6_21rocsparse_index_base_b,comdat
	.globl	_ZN9rocsparseL22bsrxmvn_general_kernelILj1024ELj32EfllDF16_DF16_fEEv20rocsparse_direction_NS_24const_host_device_scalarIT1_EET3_PKS5_PKT2_SA_S7_PKT4_S5_PKT5_S4_PT6_21rocsparse_index_base_b ; -- Begin function _ZN9rocsparseL22bsrxmvn_general_kernelILj1024ELj32EfllDF16_DF16_fEEv20rocsparse_direction_NS_24const_host_device_scalarIT1_EET3_PKS5_PKT2_SA_S7_PKT4_S5_PKT5_S4_PT6_21rocsparse_index_base_b
	.p2align	8
	.type	_ZN9rocsparseL22bsrxmvn_general_kernelILj1024ELj32EfllDF16_DF16_fEEv20rocsparse_direction_NS_24const_host_device_scalarIT1_EET3_PKS5_PKT2_SA_S7_PKT4_S5_PKT5_S4_PT6_21rocsparse_index_base_b,@function
_ZN9rocsparseL22bsrxmvn_general_kernelILj1024ELj32EfllDF16_DF16_fEEv20rocsparse_direction_NS_24const_host_device_scalarIT1_EET3_PKS5_PKT2_SA_S7_PKT4_S5_PKT5_S4_PT6_21rocsparse_index_base_b: ; @_ZN9rocsparseL22bsrxmvn_general_kernelILj1024ELj32EfllDF16_DF16_fEEv20rocsparse_direction_NS_24const_host_device_scalarIT1_EET3_PKS5_PKT2_SA_S7_PKT4_S5_PKT5_S4_PT6_21rocsparse_index_base_b
; %bb.0:
	s_clause 0x2
	s_load_b64 s[12:13], s[0:1], 0x60
	s_load_b64 s[14:15], s[0:1], 0x8
	;; [unrolled: 1-line block ×3, first 2 shown]
	s_wait_kmcnt 0x0
	s_bitcmp1_b32 s13, 0
	s_cselect_b32 s2, -1, 0
	s_delay_alu instid0(SALU_CYCLE_1)
	s_and_b32 vcc_lo, exec_lo, s2
	s_xor_b32 s2, s2, -1
	s_cbranch_vccnz .LBB62_2
; %bb.1:
	s_load_b32 s14, s[14:15], 0x0
.LBB62_2:
	s_and_not1_b32 vcc_lo, exec_lo, s2
	s_cbranch_vccnz .LBB62_4
; %bb.3:
	s_load_b32 s16, s[16:17], 0x0
.LBB62_4:
	s_wait_kmcnt 0x0
	s_cmp_neq_f32 s14, 0
	s_mov_b32 s23, 0
	s_cselect_b32 s2, -1, 0
	s_cmp_neq_f32 s16, 1.0
	s_cselect_b32 s3, -1, 0
	s_delay_alu instid0(SALU_CYCLE_1) | instskip(NEXT) | instid1(SALU_CYCLE_1)
	s_or_b32 s2, s2, s3
	s_and_not1_b32 vcc_lo, exec_lo, s2
	s_cbranch_vccnz .LBB62_26
; %bb.5:
	s_load_b64 s[2:3], s[0:1], 0x18
	s_mov_b32 s22, ttmp9
	s_mov_b32 s13, s23
	s_wait_kmcnt 0x0
	s_cmp_eq_u64 s[2:3], 0
	s_cbranch_scc1 .LBB62_7
; %bb.6:
	s_lshl_b64 s[4:5], s[22:23], 3
	s_delay_alu instid0(SALU_CYCLE_1)
	s_add_nc_u64 s[2:3], s[2:3], s[4:5]
	s_load_b64 s[2:3], s[2:3], 0x0
	s_wait_kmcnt 0x0
	s_sub_nc_u64 s[22:23], s[2:3], s[12:13]
.LBB62_7:
	s_load_b64 s[18:19], s[0:1], 0x40
	v_lshrrev_b32_e32 v1, 5, v0
	v_mov_b32_e32 v2, 0
	s_mov_b32 s2, exec_lo
	s_wait_kmcnt 0x0
	s_delay_alu instid0(VALU_DEP_1)
	v_cmpx_gt_i64_e64 s[18:19], v[1:2]
	s_cbranch_execz .LBB62_26
; %bb.8:
	s_clause 0x2
	s_load_b256 s[4:11], s[0:1], 0x20
	s_load_b64 s[2:3], s[0:1], 0x48
	s_load_b64 s[20:21], s[0:1], 0x58
	v_dual_mov_b32 v4, v2 :: v_dual_and_b32 v3, 31, v0
	v_mbcnt_lo_u32_b32 v0, -1, 0
	s_lshl_b64 s[24:25], s[22:23], 3
	s_load_b32 s17, s[0:1], 0x0
	s_mul_u64 s[22:23], s[22:23], s[18:19]
	v_cmp_gt_u64_e64 s0, s[18:19], v[3:4]
	v_xor_b32_e32 v5, 16, v0
	v_xor_b32_e32 v6, 8, v0
	;; [unrolled: 1-line block ×5, first 2 shown]
	v_cmp_gt_i32_e32 vcc_lo, 32, v5
	v_lshlrev_b32_e32 v10, 1, v3
	v_cmp_eq_u32_e64 s1, 31, v3
	s_mov_b32 s15, 0
	v_cndmask_b32_e32 v5, v0, v5, vcc_lo
	s_wait_kmcnt 0x0
	s_add_nc_u64 s[4:5], s[4:5], s[24:25]
	v_cmp_gt_i32_e32 vcc_lo, 32, v6
	s_load_b64 s[26:27], s[4:5], 0x0
	s_add_nc_u64 s[24:25], s[6:7], s[24:25]
	s_cmp_eq_u64 s[6:7], 0
	s_add_nc_u64 s[4:5], s[4:5], 8
	v_cndmask_b32_e32 v6, v0, v6, vcc_lo
	v_cmp_gt_i32_e32 vcc_lo, 32, v7
	s_cselect_b32 s5, s5, s25
	s_cselect_b32 s4, s4, s24
	s_cmp_lg_u32 s17, 0
	s_load_b64 s[24:25], s[4:5], 0x0
	v_cndmask_b32_e32 v7, v0, v7, vcc_lo
	v_cmp_gt_i32_e32 vcc_lo, 32, v8
	s_cselect_b32 s17, -1, 0
	s_cmp_eq_f32 s16, 0
	s_wait_alu 0xfffd
	v_cndmask_b32_e32 v8, v0, v8, vcc_lo
	v_cmp_gt_i32_e32 vcc_lo, 32, v9
	s_cselect_b32 s33, -1, 0
	s_wait_kmcnt 0x0
	s_sub_nc_u64 s[4:5], s[26:27], s[12:13]
	v_lshlrev_b32_e32 v19, 2, v8
	s_wait_alu 0xfffd
	v_cndmask_b32_e32 v9, v0, v9, vcc_lo
	v_lshlrev_b32_e32 v0, 2, v5
	v_lshlrev_b32_e32 v17, 2, v6
	v_mad_co_u64_u32 v[5:6], null, s18, s4, v[1:2]
	s_mul_i32 s6, s19, s4
	s_mul_i32 s7, s18, s5
	v_lshlrev_b32_e32 v18, 2, v7
	v_lshlrev_b32_e32 v20, 2, v9
	v_add3_u32 v7, s7, s6, v6
	v_mul_lo_u32 v9, s19, v5
	v_mad_co_u64_u32 v[5:6], null, s18, v5, 0
	s_lshl_b64 s[6:7], s[22:23], 2
	v_mul_lo_u32 v11, s18, v7
	v_add_co_u32 v7, s2, s2, v10
	s_wait_alu 0xf1ff
	v_add_co_ci_u32_e64 v8, null, s3, 0, s2
	v_cmp_lt_i64_e64 s3, s[26:27], s[24:25]
	s_wait_alu 0xfffe
	s_add_nc_u64 s[6:7], s[20:21], s[6:7]
	s_sub_nc_u64 s[20:21], s[24:25], s[12:13]
	v_add3_u32 v6, v6, v11, v9
	s_lshl_b64 s[22:23], s[18:19], 1
	s_lshl_b64 s[24:25], s[18:19], 5
	s_mul_u64 s[26:27], s[18:19], s[18:19]
	s_branch .LBB62_10
.LBB62_9:                               ;   in Loop: Header=BB62_10 Depth=1
	s_wait_alu 0xfffe
	s_or_b32 exec_lo, exec_lo, s2
	v_add_co_u32 v1, vcc_lo, v1, 32
	s_wait_alu 0xfffd
	v_add_co_ci_u32_e64 v2, null, 0, v2, vcc_lo
	v_add_co_u32 v5, s2, v5, s24
	s_wait_alu 0xf1ff
	v_add_co_ci_u32_e64 v6, null, s25, v6, s2
	s_delay_alu instid0(VALU_DEP_3)
	v_cmp_le_i64_e32 vcc_lo, s[18:19], v[1:2]
	s_or_b32 s15, vcc_lo, s15
	s_wait_alu 0xfffe
	s_and_not1_b32 exec_lo, exec_lo, s15
	s_cbranch_execz .LBB62_26
.LBB62_10:                              ; =>This Loop Header: Depth=1
                                        ;     Child Loop BB62_14 Depth 2
                                        ;       Child Loop BB62_17 Depth 3
	v_mov_b32_e32 v21, 0
	s_and_not1_b32 vcc_lo, exec_lo, s3
	s_wait_alu 0xfffe
	s_cbranch_vccnz .LBB62_21
; %bb.11:                               ;   in Loop: Header=BB62_10 Depth=1
	s_wait_dscnt 0x0
	v_dual_mov_b32 v21, 0 :: v_dual_mov_b32 v10, v6
	v_mov_b32_e32 v9, v5
	s_mov_b64 s[28:29], s[4:5]
	s_branch .LBB62_14
.LBB62_12:                              ;   in Loop: Header=BB62_14 Depth=2
	s_or_b32 exec_lo, exec_lo, s35
.LBB62_13:                              ;   in Loop: Header=BB62_14 Depth=2
	s_delay_alu instid0(SALU_CYCLE_1)
	s_or_b32 exec_lo, exec_lo, s34
	s_wait_alu 0xfffe
	s_add_nc_u64 s[28:29], s[28:29], 1
	v_add_co_u32 v9, vcc_lo, v9, s26
	s_wait_alu 0xfffe
	v_cmp_ge_i64_e64 s2, s[28:29], s[20:21]
	s_wait_alu 0xfffd
	v_add_co_ci_u32_e64 v10, null, s27, v10, vcc_lo
	s_and_b32 vcc_lo, exec_lo, s2
	s_wait_alu 0xfffe
	s_cbranch_vccnz .LBB62_21
.LBB62_14:                              ;   Parent Loop BB62_10 Depth=1
                                        ; =>  This Loop Header: Depth=2
                                        ;       Child Loop BB62_17 Depth 3
	s_and_saveexec_b32 s34, s0
	s_cbranch_execz .LBB62_13
; %bb.15:                               ;   in Loop: Header=BB62_14 Depth=2
	s_wait_alu 0xfffe
	s_lshl_b64 s[30:31], s[28:29], 3
	v_dual_mov_b32 v14, v4 :: v_dual_mov_b32 v13, v3
	s_wait_alu 0xfffe
	s_add_nc_u64 s[30:31], s[8:9], s[30:31]
	s_mov_b32 s35, 0
	s_load_b64 s[30:31], s[30:31], 0x0
	s_wait_kmcnt 0x0
	s_sub_nc_u64 s[30:31], s[30:31], s[12:13]
	s_wait_alu 0xfffe
	v_mad_co_u64_u32 v[11:12], null, s22, s30, v[7:8]
	s_mul_i32 s2, s23, s30
	s_mul_i32 s30, s22, s31
	s_wait_alu 0xfffe
	v_add3_u32 v12, s30, s2, v12
	s_mul_u64 s[30:31], s[28:29], s[18:19]
	s_branch .LBB62_17
.LBB62_16:                              ;   in Loop: Header=BB62_17 Depth=3
	s_delay_alu instid0(VALU_DEP_1) | instskip(NEXT) | instid1(VALU_DEP_1)
	v_lshlrev_b64_e32 v[15:16], 1, v[15:16]
	v_add_co_u32 v15, vcc_lo, s10, v15
	s_wait_alu 0xfffd
	s_delay_alu instid0(VALU_DEP_2)
	v_add_co_ci_u32_e64 v16, null, s11, v16, vcc_lo
	v_add_co_u32 v13, vcc_lo, v13, 32
	global_load_u16 v22, v[11:12], off
	global_load_u16 v15, v[15:16], off
	s_wait_alu 0xfffd
	v_add_co_ci_u32_e64 v14, null, 0, v14, vcc_lo
	v_add_co_u32 v11, s2, v11, 64
	s_wait_alu 0xf1ff
	v_add_co_ci_u32_e64 v12, null, 0, v12, s2
	s_delay_alu instid0(VALU_DEP_3)
	v_cmp_le_i64_e32 vcc_lo, s[18:19], v[13:14]
	s_or_b32 s35, vcc_lo, s35
	s_wait_loadcnt 0x0
	v_fma_mix_f32 v21, v15, v22, v21 op_sel_hi:[1,1,0]
	s_and_not1_b32 exec_lo, exec_lo, s35
	s_cbranch_execz .LBB62_12
.LBB62_17:                              ;   Parent Loop BB62_10 Depth=1
                                        ;     Parent Loop BB62_14 Depth=2
                                        ; =>    This Inner Loop Header: Depth=3
	s_and_b32 vcc_lo, exec_lo, s17
	s_wait_alu 0xfffe
	s_cbranch_vccz .LBB62_19
; %bb.18:                               ;   in Loop: Header=BB62_17 Depth=3
	v_add_co_u32 v15, vcc_lo, v13, s30
	s_wait_alu 0xfffd
	v_add_co_ci_u32_e64 v16, null, s31, v14, vcc_lo
	s_delay_alu instid0(VALU_DEP_2) | instskip(NEXT) | instid1(VALU_DEP_2)
	v_mul_lo_u32 v22, v15, s19
	v_mul_lo_u32 v23, v16, s18
	v_mad_co_u64_u32 v[15:16], null, v15, s18, v[1:2]
	s_delay_alu instid0(VALU_DEP_1)
	v_add3_u32 v16, v23, v16, v22
	s_cbranch_execnz .LBB62_16
	s_branch .LBB62_20
.LBB62_19:                              ;   in Loop: Header=BB62_17 Depth=3
                                        ; implicit-def: $vgpr15_vgpr16
.LBB62_20:                              ;   in Loop: Header=BB62_17 Depth=3
	v_add_co_u32 v15, vcc_lo, v9, v13
	s_wait_alu 0xfffd
	v_add_co_ci_u32_e64 v16, null, v10, v14, vcc_lo
	s_branch .LBB62_16
.LBB62_21:                              ;   in Loop: Header=BB62_10 Depth=1
	ds_bpermute_b32 v9, v0, v21
	s_wait_dscnt 0x0
	v_add_f32_e32 v9, v21, v9
	ds_bpermute_b32 v10, v17, v9
	s_wait_dscnt 0x0
	v_add_f32_e32 v9, v9, v10
	;; [unrolled: 3-line block ×4, first 2 shown]
	ds_bpermute_b32 v10, v20, v9
	s_and_saveexec_b32 s2, s1
	s_cbranch_execz .LBB62_9
; %bb.22:                               ;   in Loop: Header=BB62_10 Depth=1
	s_wait_dscnt 0x0
	v_add_f32_e32 v11, v9, v10
	v_lshlrev_b64_e32 v[9:10], 2, v[1:2]
	s_and_b32 vcc_lo, exec_lo, s33
	s_delay_alu instid0(VALU_DEP_2)
	v_mul_f32_e32 v11, s14, v11
	s_wait_alu 0xfffe
	s_cbranch_vccz .LBB62_24
; %bb.23:                               ;   in Loop: Header=BB62_10 Depth=1
	s_delay_alu instid0(VALU_DEP_2)
	v_add_co_u32 v12, vcc_lo, s6, v9
	s_wait_alu 0xfffd
	v_add_co_ci_u32_e64 v13, null, s7, v10, vcc_lo
	global_store_b32 v[12:13], v11, off
	s_cbranch_execnz .LBB62_9
	s_branch .LBB62_25
.LBB62_24:                              ;   in Loop: Header=BB62_10 Depth=1
.LBB62_25:                              ;   in Loop: Header=BB62_10 Depth=1
	s_delay_alu instid0(VALU_DEP_2)
	v_add_co_u32 v9, vcc_lo, s6, v9
	s_wait_alu 0xfffd
	v_add_co_ci_u32_e64 v10, null, s7, v10, vcc_lo
	global_load_b32 v12, v[9:10], off
	s_wait_loadcnt 0x0
	v_fmac_f32_e32 v11, s16, v12
	global_store_b32 v[9:10], v11, off
	s_branch .LBB62_9
.LBB62_26:
	s_endpgm
	.section	.rodata,"a",@progbits
	.p2align	6, 0x0
	.amdhsa_kernel _ZN9rocsparseL22bsrxmvn_general_kernelILj1024ELj32EfllDF16_DF16_fEEv20rocsparse_direction_NS_24const_host_device_scalarIT1_EET3_PKS5_PKT2_SA_S7_PKT4_S5_PKT5_S4_PT6_21rocsparse_index_base_b
		.amdhsa_group_segment_fixed_size 0
		.amdhsa_private_segment_fixed_size 0
		.amdhsa_kernarg_size 104
		.amdhsa_user_sgpr_count 2
		.amdhsa_user_sgpr_dispatch_ptr 0
		.amdhsa_user_sgpr_queue_ptr 0
		.amdhsa_user_sgpr_kernarg_segment_ptr 1
		.amdhsa_user_sgpr_dispatch_id 0
		.amdhsa_user_sgpr_private_segment_size 0
		.amdhsa_wavefront_size32 1
		.amdhsa_uses_dynamic_stack 0
		.amdhsa_enable_private_segment 0
		.amdhsa_system_sgpr_workgroup_id_x 1
		.amdhsa_system_sgpr_workgroup_id_y 0
		.amdhsa_system_sgpr_workgroup_id_z 0
		.amdhsa_system_sgpr_workgroup_info 0
		.amdhsa_system_vgpr_workitem_id 0
		.amdhsa_next_free_vgpr 24
		.amdhsa_next_free_sgpr 36
		.amdhsa_reserve_vcc 1
		.amdhsa_float_round_mode_32 0
		.amdhsa_float_round_mode_16_64 0
		.amdhsa_float_denorm_mode_32 3
		.amdhsa_float_denorm_mode_16_64 3
		.amdhsa_fp16_overflow 0
		.amdhsa_workgroup_processor_mode 1
		.amdhsa_memory_ordered 1
		.amdhsa_forward_progress 1
		.amdhsa_inst_pref_size 11
		.amdhsa_round_robin_scheduling 0
		.amdhsa_exception_fp_ieee_invalid_op 0
		.amdhsa_exception_fp_denorm_src 0
		.amdhsa_exception_fp_ieee_div_zero 0
		.amdhsa_exception_fp_ieee_overflow 0
		.amdhsa_exception_fp_ieee_underflow 0
		.amdhsa_exception_fp_ieee_inexact 0
		.amdhsa_exception_int_div_zero 0
	.end_amdhsa_kernel
	.section	.text._ZN9rocsparseL22bsrxmvn_general_kernelILj1024ELj32EfllDF16_DF16_fEEv20rocsparse_direction_NS_24const_host_device_scalarIT1_EET3_PKS5_PKT2_SA_S7_PKT4_S5_PKT5_S4_PT6_21rocsparse_index_base_b,"axG",@progbits,_ZN9rocsparseL22bsrxmvn_general_kernelILj1024ELj32EfllDF16_DF16_fEEv20rocsparse_direction_NS_24const_host_device_scalarIT1_EET3_PKS5_PKT2_SA_S7_PKT4_S5_PKT5_S4_PT6_21rocsparse_index_base_b,comdat
.Lfunc_end62:
	.size	_ZN9rocsparseL22bsrxmvn_general_kernelILj1024ELj32EfllDF16_DF16_fEEv20rocsparse_direction_NS_24const_host_device_scalarIT1_EET3_PKS5_PKT2_SA_S7_PKT4_S5_PKT5_S4_PT6_21rocsparse_index_base_b, .Lfunc_end62-_ZN9rocsparseL22bsrxmvn_general_kernelILj1024ELj32EfllDF16_DF16_fEEv20rocsparse_direction_NS_24const_host_device_scalarIT1_EET3_PKS5_PKT2_SA_S7_PKT4_S5_PKT5_S4_PT6_21rocsparse_index_base_b
                                        ; -- End function
	.set _ZN9rocsparseL22bsrxmvn_general_kernelILj1024ELj32EfllDF16_DF16_fEEv20rocsparse_direction_NS_24const_host_device_scalarIT1_EET3_PKS5_PKT2_SA_S7_PKT4_S5_PKT5_S4_PT6_21rocsparse_index_base_b.num_vgpr, 24
	.set _ZN9rocsparseL22bsrxmvn_general_kernelILj1024ELj32EfllDF16_DF16_fEEv20rocsparse_direction_NS_24const_host_device_scalarIT1_EET3_PKS5_PKT2_SA_S7_PKT4_S5_PKT5_S4_PT6_21rocsparse_index_base_b.num_agpr, 0
	.set _ZN9rocsparseL22bsrxmvn_general_kernelILj1024ELj32EfllDF16_DF16_fEEv20rocsparse_direction_NS_24const_host_device_scalarIT1_EET3_PKS5_PKT2_SA_S7_PKT4_S5_PKT5_S4_PT6_21rocsparse_index_base_b.numbered_sgpr, 36
	.set _ZN9rocsparseL22bsrxmvn_general_kernelILj1024ELj32EfllDF16_DF16_fEEv20rocsparse_direction_NS_24const_host_device_scalarIT1_EET3_PKS5_PKT2_SA_S7_PKT4_S5_PKT5_S4_PT6_21rocsparse_index_base_b.num_named_barrier, 0
	.set _ZN9rocsparseL22bsrxmvn_general_kernelILj1024ELj32EfllDF16_DF16_fEEv20rocsparse_direction_NS_24const_host_device_scalarIT1_EET3_PKS5_PKT2_SA_S7_PKT4_S5_PKT5_S4_PT6_21rocsparse_index_base_b.private_seg_size, 0
	.set _ZN9rocsparseL22bsrxmvn_general_kernelILj1024ELj32EfllDF16_DF16_fEEv20rocsparse_direction_NS_24const_host_device_scalarIT1_EET3_PKS5_PKT2_SA_S7_PKT4_S5_PKT5_S4_PT6_21rocsparse_index_base_b.uses_vcc, 1
	.set _ZN9rocsparseL22bsrxmvn_general_kernelILj1024ELj32EfllDF16_DF16_fEEv20rocsparse_direction_NS_24const_host_device_scalarIT1_EET3_PKS5_PKT2_SA_S7_PKT4_S5_PKT5_S4_PT6_21rocsparse_index_base_b.uses_flat_scratch, 0
	.set _ZN9rocsparseL22bsrxmvn_general_kernelILj1024ELj32EfllDF16_DF16_fEEv20rocsparse_direction_NS_24const_host_device_scalarIT1_EET3_PKS5_PKT2_SA_S7_PKT4_S5_PKT5_S4_PT6_21rocsparse_index_base_b.has_dyn_sized_stack, 0
	.set _ZN9rocsparseL22bsrxmvn_general_kernelILj1024ELj32EfllDF16_DF16_fEEv20rocsparse_direction_NS_24const_host_device_scalarIT1_EET3_PKS5_PKT2_SA_S7_PKT4_S5_PKT5_S4_PT6_21rocsparse_index_base_b.has_recursion, 0
	.set _ZN9rocsparseL22bsrxmvn_general_kernelILj1024ELj32EfllDF16_DF16_fEEv20rocsparse_direction_NS_24const_host_device_scalarIT1_EET3_PKS5_PKT2_SA_S7_PKT4_S5_PKT5_S4_PT6_21rocsparse_index_base_b.has_indirect_call, 0
	.section	.AMDGPU.csdata,"",@progbits
; Kernel info:
; codeLenInByte = 1292
; TotalNumSgprs: 38
; NumVgprs: 24
; ScratchSize: 0
; MemoryBound: 0
; FloatMode: 240
; IeeeMode: 1
; LDSByteSize: 0 bytes/workgroup (compile time only)
; SGPRBlocks: 0
; VGPRBlocks: 2
; NumSGPRsForWavesPerEU: 38
; NumVGPRsForWavesPerEU: 24
; Occupancy: 16
; WaveLimiterHint : 0
; COMPUTE_PGM_RSRC2:SCRATCH_EN: 0
; COMPUTE_PGM_RSRC2:USER_SGPR: 2
; COMPUTE_PGM_RSRC2:TRAP_HANDLER: 0
; COMPUTE_PGM_RSRC2:TGID_X_EN: 1
; COMPUTE_PGM_RSRC2:TGID_Y_EN: 0
; COMPUTE_PGM_RSRC2:TGID_Z_EN: 0
; COMPUTE_PGM_RSRC2:TIDIG_COMP_CNT: 0
	.section	.text._ZN9rocsparseL22bsrxmvn_general_kernelILj64ELj8Efii18rocsparse_bfloat16S1_fEEv20rocsparse_direction_NS_24const_host_device_scalarIT1_EET3_PKS6_PKT2_SB_S8_PKT4_S6_PKT5_S5_PT6_21rocsparse_index_base_b,"axG",@progbits,_ZN9rocsparseL22bsrxmvn_general_kernelILj64ELj8Efii18rocsparse_bfloat16S1_fEEv20rocsparse_direction_NS_24const_host_device_scalarIT1_EET3_PKS6_PKT2_SB_S8_PKT4_S6_PKT5_S5_PT6_21rocsparse_index_base_b,comdat
	.globl	_ZN9rocsparseL22bsrxmvn_general_kernelILj64ELj8Efii18rocsparse_bfloat16S1_fEEv20rocsparse_direction_NS_24const_host_device_scalarIT1_EET3_PKS6_PKT2_SB_S8_PKT4_S6_PKT5_S5_PT6_21rocsparse_index_base_b ; -- Begin function _ZN9rocsparseL22bsrxmvn_general_kernelILj64ELj8Efii18rocsparse_bfloat16S1_fEEv20rocsparse_direction_NS_24const_host_device_scalarIT1_EET3_PKS6_PKT2_SB_S8_PKT4_S6_PKT5_S5_PT6_21rocsparse_index_base_b
	.p2align	8
	.type	_ZN9rocsparseL22bsrxmvn_general_kernelILj64ELj8Efii18rocsparse_bfloat16S1_fEEv20rocsparse_direction_NS_24const_host_device_scalarIT1_EET3_PKS6_PKT2_SB_S8_PKT4_S6_PKT5_S5_PT6_21rocsparse_index_base_b,@function
_ZN9rocsparseL22bsrxmvn_general_kernelILj64ELj8Efii18rocsparse_bfloat16S1_fEEv20rocsparse_direction_NS_24const_host_device_scalarIT1_EET3_PKS6_PKT2_SB_S8_PKT4_S6_PKT5_S5_PT6_21rocsparse_index_base_b: ; @_ZN9rocsparseL22bsrxmvn_general_kernelILj64ELj8Efii18rocsparse_bfloat16S1_fEEv20rocsparse_direction_NS_24const_host_device_scalarIT1_EET3_PKS6_PKT2_SB_S8_PKT4_S6_PKT5_S5_PT6_21rocsparse_index_base_b
; %bb.0:
	s_clause 0x2
	s_load_b64 s[2:3], s[0:1], 0x60
	s_load_b64 s[12:13], s[0:1], 0x8
	;; [unrolled: 1-line block ×3, first 2 shown]
	s_wait_kmcnt 0x0
	s_bitcmp1_b32 s3, 0
	s_cselect_b32 s3, -1, 0
	s_delay_alu instid0(SALU_CYCLE_1)
	s_and_b32 vcc_lo, exec_lo, s3
	s_xor_b32 s3, s3, -1
	s_cbranch_vccnz .LBB63_2
; %bb.1:
	s_load_b32 s12, s[12:13], 0x0
.LBB63_2:
	s_and_not1_b32 vcc_lo, exec_lo, s3
	s_cbranch_vccnz .LBB63_4
; %bb.3:
	s_load_b32 s14, s[14:15], 0x0
.LBB63_4:
	s_wait_kmcnt 0x0
	s_cmp_neq_f32 s12, 0
	s_cselect_b32 s3, -1, 0
	s_cmp_neq_f32 s14, 1.0
	s_cselect_b32 s4, -1, 0
	s_delay_alu instid0(SALU_CYCLE_1) | instskip(NEXT) | instid1(SALU_CYCLE_1)
	s_or_b32 s3, s3, s4
	s_and_not1_b32 vcc_lo, exec_lo, s3
	s_cbranch_vccnz .LBB63_27
; %bb.5:
	s_load_b64 s[4:5], s[0:1], 0x18
	s_wait_kmcnt 0x0
	s_cmp_eq_u64 s[4:5], 0
	s_cbranch_scc1 .LBB63_7
; %bb.6:
	s_mov_b32 s6, ttmp9
	s_ashr_i32 s7, ttmp9, 31
	s_delay_alu instid0(SALU_CYCLE_1) | instskip(NEXT) | instid1(SALU_CYCLE_1)
	s_lshl_b64 s[6:7], s[6:7], 2
	s_add_nc_u64 s[4:5], s[4:5], s[6:7]
	s_load_b32 s3, s[4:5], 0x0
	s_wait_kmcnt 0x0
	s_sub_co_i32 s22, s3, s2
	s_branch .LBB63_8
.LBB63_7:
	s_mov_b32 s22, ttmp9
.LBB63_8:
	s_load_b32 s16, s[0:1], 0x40
	v_lshrrev_b32_e32 v1, 3, v0
	s_mov_b32 s3, exec_lo
	s_wait_kmcnt 0x0
	s_delay_alu instid0(VALU_DEP_1)
	v_cmpx_gt_i32_e64 s16, v1
	s_cbranch_execz .LBB63_27
; %bb.9:
	s_load_b256 s[4:11], s[0:1], 0x20
	s_ashr_i32 s23, s22, 31
	v_mbcnt_lo_u32_b32 v5, -1, 0
	s_lshl_b64 s[18:19], s[22:23], 2
	s_load_b32 s15, s[0:1], 0x0
	v_dual_mov_b32 v2, 0 :: v_dual_and_b32 v3, 7, v0
	s_delay_alu instid0(VALU_DEP_2)
	v_xor_b32_e32 v6, 4, v5
	v_xor_b32_e32 v7, 2, v5
	;; [unrolled: 1-line block ×3, first 2 shown]
	v_mul_lo_u32 v0, s16, v1
	v_mul_lo_u32 v11, s16, v3
	v_cmp_gt_i32_e32 vcc_lo, 32, v6
	s_mov_b32 s17, 0
	s_mul_i32 s27, s22, s16
	v_cndmask_b32_e32 v6, v5, v6, vcc_lo
	v_cmp_gt_i32_e32 vcc_lo, 32, v7
	v_mov_b32_e32 v4, v2
	s_wait_kmcnt 0x0
	s_add_nc_u64 s[4:5], s[4:5], s[18:19]
	s_add_nc_u64 s[18:19], s[6:7], s[18:19]
	s_load_b32 s13, s[4:5], 0x0
	s_add_nc_u64 s[20:21], s[4:5], 4
	v_cndmask_b32_e32 v7, v5, v7, vcc_lo
	v_cmp_gt_i32_e32 vcc_lo, 32, v8
	s_delay_alu instid0(VALU_DEP_2) | instskip(SKIP_2) | instid1(VALU_DEP_1)
	v_lshlrev_b32_e32 v13, 2, v7
	s_wait_alu 0xfffd
	v_dual_cndmask_b32 v5, v5, v8 :: v_dual_lshlrev_b32 v12, 2, v6
	v_lshlrev_b32_e32 v14, 2, v5
	s_wait_kmcnt 0x0
	s_sub_co_i32 s4, s13, s2
	s_cmp_eq_u64 s[6:7], 0
	s_cselect_b32 s7, s21, s19
	s_cselect_b32 s6, s20, s18
	s_load_b32 s5, s[6:7], 0x0
	s_clause 0x1
	s_load_b64 s[6:7], s[0:1], 0x58
	s_load_b64 s[18:19], s[0:1], 0x48
	v_cmp_gt_u32_e64 s0, s16, v3
	v_cmp_eq_u32_e64 s1, 7, v3
	s_mul_u64 s[20:21], s[16:17], s[16:17]
	s_wait_kmcnt 0x0
	s_sub_co_i32 s3, s5, s2
	s_cmp_lt_i32 s13, s5
	s_cselect_b32 s13, -1, 0
	s_cmp_lg_u32 s15, 0
	s_cselect_b32 s15, -1, 0
	s_cmp_eq_f32 s14, 0
	s_cselect_b32 s26, -1, 0
	s_ashr_i32 s5, s4, 31
	s_delay_alu instid0(SALU_CYCLE_1)
	s_mul_u64 s[22:23], s[4:5], s[20:21]
	s_lshl_b32 s5, s16, 3
	s_branch .LBB63_11
.LBB63_10:                              ;   in Loop: Header=BB63_11 Depth=1
	s_wait_alu 0xfffe
	s_or_b32 exec_lo, exec_lo, s24
	v_add_nc_u32_e32 v1, 8, v1
	v_add_nc_u32_e32 v0, s5, v0
	s_delay_alu instid0(VALU_DEP_2)
	v_cmp_le_i32_e32 vcc_lo, s16, v1
	s_or_b32 s17, vcc_lo, s17
	s_wait_alu 0xfffe
	s_and_not1_b32 exec_lo, exec_lo, s17
	s_cbranch_execz .LBB63_27
.LBB63_11:                              ; =>This Loop Header: Depth=1
                                        ;     Child Loop BB63_15 Depth 2
                                        ;       Child Loop BB63_18 Depth 3
	v_mov_b32_e32 v15, 0
	s_and_not1_b32 vcc_lo, exec_lo, s13
	s_wait_alu 0xfffe
	s_cbranch_vccnz .LBB63_22
; %bb.12:                               ;   in Loop: Header=BB63_11 Depth=1
	v_ashrrev_i32_e32 v5, 31, v0
	v_add_co_u32 v16, vcc_lo, s22, v0
	v_mov_b32_e32 v15, 0
	s_mov_b32 s24, s4
	s_wait_alu 0xfffd
	v_add_co_ci_u32_e64 v17, null, s23, v5, vcc_lo
	s_branch .LBB63_15
.LBB63_13:                              ;   in Loop: Header=BB63_15 Depth=2
	s_or_b32 exec_lo, exec_lo, s25
.LBB63_14:                              ;   in Loop: Header=BB63_15 Depth=2
	s_wait_alu 0xfffe
	s_or_b32 exec_lo, exec_lo, s28
	v_add_co_u32 v16, vcc_lo, v16, s20
	s_wait_alu 0xfffd
	v_add_co_ci_u32_e64 v17, null, s21, v17, vcc_lo
	s_add_co_i32 s24, s24, 1
	s_wait_alu 0xfffe
	s_cmp_ge_i32 s24, s3
	s_cbranch_scc1 .LBB63_22
.LBB63_15:                              ;   Parent Loop BB63_11 Depth=1
                                        ; =>  This Loop Header: Depth=2
                                        ;       Child Loop BB63_18 Depth 3
	s_and_saveexec_b32 s28, s0
	s_cbranch_execz .LBB63_14
; %bb.16:                               ;   in Loop: Header=BB63_15 Depth=2
	s_wait_alu 0xfffe
	s_ashr_i32 s25, s24, 31
	s_wait_dscnt 0x0
	v_mad_co_u64_u32 v[5:6], null, s20, s24, v[1:2]
	s_wait_alu 0xfffe
	s_lshl_b64 s[30:31], s[24:25], 2
	s_mul_i32 s25, s20, s25
	s_wait_alu 0xfffe
	s_add_nc_u64 s[30:31], s[8:9], s[30:31]
	v_mov_b32_e32 v8, v4
	s_load_b32 s29, s[30:31], 0x0
	s_mul_i32 s30, s21, s24
	v_dual_mov_b32 v18, v11 :: v_dual_mov_b32 v7, v3
	s_wait_alu 0xfffe
	v_add3_u32 v6, s25, s30, v6
	s_wait_kmcnt 0x0
	s_sub_co_i32 s25, s29, s2
	s_wait_alu 0xfffe
	s_mul_i32 s29, s25, s16
	s_mov_b32 s25, 0
	s_branch .LBB63_18
.LBB63_17:                              ;   in Loop: Header=BB63_18 Depth=3
	v_add_nc_u32_e32 v19, s29, v7
	s_delay_alu instid0(VALU_DEP_2) | instskip(SKIP_1) | instid1(VALU_DEP_3)
	v_lshlrev_b64_e32 v[9:10], 1, v[9:10]
	v_add_nc_u32_e32 v18, s5, v18
	v_ashrrev_i32_e32 v20, 31, v19
	s_delay_alu instid0(VALU_DEP_3) | instskip(SKIP_1) | instid1(VALU_DEP_4)
	v_add_co_u32 v9, vcc_lo, s10, v9
	s_wait_alu 0xfffd
	v_add_co_ci_u32_e64 v10, null, s11, v10, vcc_lo
	s_delay_alu instid0(VALU_DEP_3) | instskip(NEXT) | instid1(VALU_DEP_1)
	v_lshlrev_b64_e32 v[19:20], 1, v[19:20]
	v_add_co_u32 v19, vcc_lo, s18, v19
	s_wait_alu 0xfffd
	s_delay_alu instid0(VALU_DEP_2)
	v_add_co_ci_u32_e64 v20, null, s19, v20, vcc_lo
	v_add_co_u32 v7, vcc_lo, v7, 8
	global_load_u16 v9, v[9:10], off
	global_load_u16 v10, v[19:20], off
	s_wait_alu 0xfffd
	v_add_co_ci_u32_e64 v8, null, 0, v8, vcc_lo
	v_cmp_le_i32_e32 vcc_lo, s16, v7
	s_or_b32 s25, vcc_lo, s25
	s_wait_loadcnt 0x1
	v_lshlrev_b32_e32 v9, 16, v9
	s_wait_loadcnt 0x0
	v_lshlrev_b32_e32 v10, 16, v10
	s_delay_alu instid0(VALU_DEP_1)
	v_fmac_f32_e32 v15, v9, v10
	s_wait_alu 0xfffe
	s_and_not1_b32 exec_lo, exec_lo, s25
	s_cbranch_execz .LBB63_13
.LBB63_18:                              ;   Parent Loop BB63_11 Depth=1
                                        ;     Parent Loop BB63_15 Depth=2
                                        ; =>    This Inner Loop Header: Depth=3
	s_and_b32 vcc_lo, exec_lo, s15
	s_wait_alu 0xfffe
	s_cbranch_vccz .LBB63_20
; %bb.19:                               ;   in Loop: Header=BB63_18 Depth=3
	v_ashrrev_i32_e32 v10, 31, v18
	v_add_co_u32 v9, vcc_lo, v5, v18
	s_wait_alu 0xfffd
	s_delay_alu instid0(VALU_DEP_2)
	v_add_co_ci_u32_e64 v10, null, v6, v10, vcc_lo
	s_cbranch_execnz .LBB63_17
	s_branch .LBB63_21
.LBB63_20:                              ;   in Loop: Header=BB63_18 Depth=3
                                        ; implicit-def: $vgpr9_vgpr10
.LBB63_21:                              ;   in Loop: Header=BB63_18 Depth=3
	v_add_co_u32 v9, vcc_lo, v16, v7
	s_wait_alu 0xfffd
	v_add_co_ci_u32_e64 v10, null, v17, v8, vcc_lo
	s_branch .LBB63_17
.LBB63_22:                              ;   in Loop: Header=BB63_11 Depth=1
	ds_bpermute_b32 v5, v12, v15
	s_wait_dscnt 0x0
	v_add_f32_e32 v5, v15, v5
	ds_bpermute_b32 v6, v13, v5
	s_wait_dscnt 0x0
	v_add_f32_e32 v5, v5, v6
	ds_bpermute_b32 v6, v14, v5
	s_and_saveexec_b32 s24, s1
	s_cbranch_execz .LBB63_10
; %bb.23:                               ;   in Loop: Header=BB63_11 Depth=1
	s_wait_dscnt 0x0
	v_dual_add_f32 v6, v5, v6 :: v_dual_add_nc_u32 v5, s27, v1
	s_and_b32 vcc_lo, exec_lo, s26
	s_delay_alu instid0(VALU_DEP_1) | instskip(NEXT) | instid1(VALU_DEP_2)
	v_mul_f32_e32 v7, s12, v6
	v_ashrrev_i32_e32 v6, 31, v5
	s_wait_alu 0xfffe
	s_cbranch_vccz .LBB63_25
; %bb.24:                               ;   in Loop: Header=BB63_11 Depth=1
	s_delay_alu instid0(VALU_DEP_1) | instskip(NEXT) | instid1(VALU_DEP_1)
	v_lshlrev_b64_e32 v[8:9], 2, v[5:6]
	v_add_co_u32 v8, vcc_lo, s6, v8
	s_wait_alu 0xfffd
	s_delay_alu instid0(VALU_DEP_2)
	v_add_co_ci_u32_e64 v9, null, s7, v9, vcc_lo
	global_store_b32 v[8:9], v7, off
	s_cbranch_execnz .LBB63_10
	s_branch .LBB63_26
.LBB63_25:                              ;   in Loop: Header=BB63_11 Depth=1
.LBB63_26:                              ;   in Loop: Header=BB63_11 Depth=1
	s_delay_alu instid0(VALU_DEP_1) | instskip(NEXT) | instid1(VALU_DEP_1)
	v_lshlrev_b64_e32 v[5:6], 2, v[5:6]
	v_add_co_u32 v5, vcc_lo, s6, v5
	s_wait_alu 0xfffd
	s_delay_alu instid0(VALU_DEP_2)
	v_add_co_ci_u32_e64 v6, null, s7, v6, vcc_lo
	global_load_b32 v8, v[5:6], off
	s_wait_loadcnt 0x0
	v_fmac_f32_e32 v7, s14, v8
	global_store_b32 v[5:6], v7, off
	s_branch .LBB63_10
.LBB63_27:
	s_endpgm
	.section	.rodata,"a",@progbits
	.p2align	6, 0x0
	.amdhsa_kernel _ZN9rocsparseL22bsrxmvn_general_kernelILj64ELj8Efii18rocsparse_bfloat16S1_fEEv20rocsparse_direction_NS_24const_host_device_scalarIT1_EET3_PKS6_PKT2_SB_S8_PKT4_S6_PKT5_S5_PT6_21rocsparse_index_base_b
		.amdhsa_group_segment_fixed_size 0
		.amdhsa_private_segment_fixed_size 0
		.amdhsa_kernarg_size 104
		.amdhsa_user_sgpr_count 2
		.amdhsa_user_sgpr_dispatch_ptr 0
		.amdhsa_user_sgpr_queue_ptr 0
		.amdhsa_user_sgpr_kernarg_segment_ptr 1
		.amdhsa_user_sgpr_dispatch_id 0
		.amdhsa_user_sgpr_private_segment_size 0
		.amdhsa_wavefront_size32 1
		.amdhsa_uses_dynamic_stack 0
		.amdhsa_enable_private_segment 0
		.amdhsa_system_sgpr_workgroup_id_x 1
		.amdhsa_system_sgpr_workgroup_id_y 0
		.amdhsa_system_sgpr_workgroup_id_z 0
		.amdhsa_system_sgpr_workgroup_info 0
		.amdhsa_system_vgpr_workitem_id 0
		.amdhsa_next_free_vgpr 21
		.amdhsa_next_free_sgpr 32
		.amdhsa_reserve_vcc 1
		.amdhsa_float_round_mode_32 0
		.amdhsa_float_round_mode_16_64 0
		.amdhsa_float_denorm_mode_32 3
		.amdhsa_float_denorm_mode_16_64 3
		.amdhsa_fp16_overflow 0
		.amdhsa_workgroup_processor_mode 1
		.amdhsa_memory_ordered 1
		.amdhsa_forward_progress 1
		.amdhsa_inst_pref_size 10
		.amdhsa_round_robin_scheduling 0
		.amdhsa_exception_fp_ieee_invalid_op 0
		.amdhsa_exception_fp_denorm_src 0
		.amdhsa_exception_fp_ieee_div_zero 0
		.amdhsa_exception_fp_ieee_overflow 0
		.amdhsa_exception_fp_ieee_underflow 0
		.amdhsa_exception_fp_ieee_inexact 0
		.amdhsa_exception_int_div_zero 0
	.end_amdhsa_kernel
	.section	.text._ZN9rocsparseL22bsrxmvn_general_kernelILj64ELj8Efii18rocsparse_bfloat16S1_fEEv20rocsparse_direction_NS_24const_host_device_scalarIT1_EET3_PKS6_PKT2_SB_S8_PKT4_S6_PKT5_S5_PT6_21rocsparse_index_base_b,"axG",@progbits,_ZN9rocsparseL22bsrxmvn_general_kernelILj64ELj8Efii18rocsparse_bfloat16S1_fEEv20rocsparse_direction_NS_24const_host_device_scalarIT1_EET3_PKS6_PKT2_SB_S8_PKT4_S6_PKT5_S5_PT6_21rocsparse_index_base_b,comdat
.Lfunc_end63:
	.size	_ZN9rocsparseL22bsrxmvn_general_kernelILj64ELj8Efii18rocsparse_bfloat16S1_fEEv20rocsparse_direction_NS_24const_host_device_scalarIT1_EET3_PKS6_PKT2_SB_S8_PKT4_S6_PKT5_S5_PT6_21rocsparse_index_base_b, .Lfunc_end63-_ZN9rocsparseL22bsrxmvn_general_kernelILj64ELj8Efii18rocsparse_bfloat16S1_fEEv20rocsparse_direction_NS_24const_host_device_scalarIT1_EET3_PKS6_PKT2_SB_S8_PKT4_S6_PKT5_S5_PT6_21rocsparse_index_base_b
                                        ; -- End function
	.set _ZN9rocsparseL22bsrxmvn_general_kernelILj64ELj8Efii18rocsparse_bfloat16S1_fEEv20rocsparse_direction_NS_24const_host_device_scalarIT1_EET3_PKS6_PKT2_SB_S8_PKT4_S6_PKT5_S5_PT6_21rocsparse_index_base_b.num_vgpr, 21
	.set _ZN9rocsparseL22bsrxmvn_general_kernelILj64ELj8Efii18rocsparse_bfloat16S1_fEEv20rocsparse_direction_NS_24const_host_device_scalarIT1_EET3_PKS6_PKT2_SB_S8_PKT4_S6_PKT5_S5_PT6_21rocsparse_index_base_b.num_agpr, 0
	.set _ZN9rocsparseL22bsrxmvn_general_kernelILj64ELj8Efii18rocsparse_bfloat16S1_fEEv20rocsparse_direction_NS_24const_host_device_scalarIT1_EET3_PKS6_PKT2_SB_S8_PKT4_S6_PKT5_S5_PT6_21rocsparse_index_base_b.numbered_sgpr, 32
	.set _ZN9rocsparseL22bsrxmvn_general_kernelILj64ELj8Efii18rocsparse_bfloat16S1_fEEv20rocsparse_direction_NS_24const_host_device_scalarIT1_EET3_PKS6_PKT2_SB_S8_PKT4_S6_PKT5_S5_PT6_21rocsparse_index_base_b.num_named_barrier, 0
	.set _ZN9rocsparseL22bsrxmvn_general_kernelILj64ELj8Efii18rocsparse_bfloat16S1_fEEv20rocsparse_direction_NS_24const_host_device_scalarIT1_EET3_PKS6_PKT2_SB_S8_PKT4_S6_PKT5_S5_PT6_21rocsparse_index_base_b.private_seg_size, 0
	.set _ZN9rocsparseL22bsrxmvn_general_kernelILj64ELj8Efii18rocsparse_bfloat16S1_fEEv20rocsparse_direction_NS_24const_host_device_scalarIT1_EET3_PKS6_PKT2_SB_S8_PKT4_S6_PKT5_S5_PT6_21rocsparse_index_base_b.uses_vcc, 1
	.set _ZN9rocsparseL22bsrxmvn_general_kernelILj64ELj8Efii18rocsparse_bfloat16S1_fEEv20rocsparse_direction_NS_24const_host_device_scalarIT1_EET3_PKS6_PKT2_SB_S8_PKT4_S6_PKT5_S5_PT6_21rocsparse_index_base_b.uses_flat_scratch, 0
	.set _ZN9rocsparseL22bsrxmvn_general_kernelILj64ELj8Efii18rocsparse_bfloat16S1_fEEv20rocsparse_direction_NS_24const_host_device_scalarIT1_EET3_PKS6_PKT2_SB_S8_PKT4_S6_PKT5_S5_PT6_21rocsparse_index_base_b.has_dyn_sized_stack, 0
	.set _ZN9rocsparseL22bsrxmvn_general_kernelILj64ELj8Efii18rocsparse_bfloat16S1_fEEv20rocsparse_direction_NS_24const_host_device_scalarIT1_EET3_PKS6_PKT2_SB_S8_PKT4_S6_PKT5_S5_PT6_21rocsparse_index_base_b.has_recursion, 0
	.set _ZN9rocsparseL22bsrxmvn_general_kernelILj64ELj8Efii18rocsparse_bfloat16S1_fEEv20rocsparse_direction_NS_24const_host_device_scalarIT1_EET3_PKS6_PKT2_SB_S8_PKT4_S6_PKT5_S5_PT6_21rocsparse_index_base_b.has_indirect_call, 0
	.section	.AMDGPU.csdata,"",@progbits
; Kernel info:
; codeLenInByte = 1180
; TotalNumSgprs: 34
; NumVgprs: 21
; ScratchSize: 0
; MemoryBound: 0
; FloatMode: 240
; IeeeMode: 1
; LDSByteSize: 0 bytes/workgroup (compile time only)
; SGPRBlocks: 0
; VGPRBlocks: 2
; NumSGPRsForWavesPerEU: 34
; NumVGPRsForWavesPerEU: 21
; Occupancy: 16
; WaveLimiterHint : 1
; COMPUTE_PGM_RSRC2:SCRATCH_EN: 0
; COMPUTE_PGM_RSRC2:USER_SGPR: 2
; COMPUTE_PGM_RSRC2:TRAP_HANDLER: 0
; COMPUTE_PGM_RSRC2:TGID_X_EN: 1
; COMPUTE_PGM_RSRC2:TGID_Y_EN: 0
; COMPUTE_PGM_RSRC2:TGID_Z_EN: 0
; COMPUTE_PGM_RSRC2:TIDIG_COMP_CNT: 0
	.section	.text._ZN9rocsparseL22bsrxmvn_general_kernelILj256ELj16Efii18rocsparse_bfloat16S1_fEEv20rocsparse_direction_NS_24const_host_device_scalarIT1_EET3_PKS6_PKT2_SB_S8_PKT4_S6_PKT5_S5_PT6_21rocsparse_index_base_b,"axG",@progbits,_ZN9rocsparseL22bsrxmvn_general_kernelILj256ELj16Efii18rocsparse_bfloat16S1_fEEv20rocsparse_direction_NS_24const_host_device_scalarIT1_EET3_PKS6_PKT2_SB_S8_PKT4_S6_PKT5_S5_PT6_21rocsparse_index_base_b,comdat
	.globl	_ZN9rocsparseL22bsrxmvn_general_kernelILj256ELj16Efii18rocsparse_bfloat16S1_fEEv20rocsparse_direction_NS_24const_host_device_scalarIT1_EET3_PKS6_PKT2_SB_S8_PKT4_S6_PKT5_S5_PT6_21rocsparse_index_base_b ; -- Begin function _ZN9rocsparseL22bsrxmvn_general_kernelILj256ELj16Efii18rocsparse_bfloat16S1_fEEv20rocsparse_direction_NS_24const_host_device_scalarIT1_EET3_PKS6_PKT2_SB_S8_PKT4_S6_PKT5_S5_PT6_21rocsparse_index_base_b
	.p2align	8
	.type	_ZN9rocsparseL22bsrxmvn_general_kernelILj256ELj16Efii18rocsparse_bfloat16S1_fEEv20rocsparse_direction_NS_24const_host_device_scalarIT1_EET3_PKS6_PKT2_SB_S8_PKT4_S6_PKT5_S5_PT6_21rocsparse_index_base_b,@function
_ZN9rocsparseL22bsrxmvn_general_kernelILj256ELj16Efii18rocsparse_bfloat16S1_fEEv20rocsparse_direction_NS_24const_host_device_scalarIT1_EET3_PKS6_PKT2_SB_S8_PKT4_S6_PKT5_S5_PT6_21rocsparse_index_base_b: ; @_ZN9rocsparseL22bsrxmvn_general_kernelILj256ELj16Efii18rocsparse_bfloat16S1_fEEv20rocsparse_direction_NS_24const_host_device_scalarIT1_EET3_PKS6_PKT2_SB_S8_PKT4_S6_PKT5_S5_PT6_21rocsparse_index_base_b
; %bb.0:
	s_clause 0x2
	s_load_b64 s[2:3], s[0:1], 0x60
	s_load_b64 s[12:13], s[0:1], 0x8
	;; [unrolled: 1-line block ×3, first 2 shown]
	s_wait_kmcnt 0x0
	s_bitcmp1_b32 s3, 0
	s_cselect_b32 s3, -1, 0
	s_delay_alu instid0(SALU_CYCLE_1)
	s_and_b32 vcc_lo, exec_lo, s3
	s_xor_b32 s3, s3, -1
	s_cbranch_vccnz .LBB64_2
; %bb.1:
	s_load_b32 s12, s[12:13], 0x0
.LBB64_2:
	s_and_not1_b32 vcc_lo, exec_lo, s3
	s_cbranch_vccnz .LBB64_4
; %bb.3:
	s_load_b32 s14, s[14:15], 0x0
.LBB64_4:
	s_wait_kmcnt 0x0
	s_cmp_neq_f32 s12, 0
	s_cselect_b32 s3, -1, 0
	s_cmp_neq_f32 s14, 1.0
	s_cselect_b32 s4, -1, 0
	s_delay_alu instid0(SALU_CYCLE_1) | instskip(NEXT) | instid1(SALU_CYCLE_1)
	s_or_b32 s3, s3, s4
	s_and_not1_b32 vcc_lo, exec_lo, s3
	s_cbranch_vccnz .LBB64_27
; %bb.5:
	s_load_b64 s[4:5], s[0:1], 0x18
	s_wait_kmcnt 0x0
	s_cmp_eq_u64 s[4:5], 0
	s_cbranch_scc1 .LBB64_7
; %bb.6:
	s_mov_b32 s6, ttmp9
	s_ashr_i32 s7, ttmp9, 31
	s_delay_alu instid0(SALU_CYCLE_1) | instskip(NEXT) | instid1(SALU_CYCLE_1)
	s_lshl_b64 s[6:7], s[6:7], 2
	s_add_nc_u64 s[4:5], s[4:5], s[6:7]
	s_load_b32 s3, s[4:5], 0x0
	s_wait_kmcnt 0x0
	s_sub_co_i32 s22, s3, s2
	s_branch .LBB64_8
.LBB64_7:
	s_mov_b32 s22, ttmp9
.LBB64_8:
	s_load_b32 s16, s[0:1], 0x40
	v_lshrrev_b32_e32 v1, 4, v0
	s_mov_b32 s3, exec_lo
	s_wait_kmcnt 0x0
	s_delay_alu instid0(VALU_DEP_1)
	v_cmpx_gt_i32_e64 s16, v1
	s_cbranch_execz .LBB64_27
; %bb.9:
	s_load_b256 s[4:11], s[0:1], 0x20
	s_ashr_i32 s23, s22, 31
	v_mbcnt_lo_u32_b32 v5, -1, 0
	s_lshl_b64 s[20:21], s[22:23], 2
	s_load_b32 s15, s[0:1], 0x0
	v_dual_mov_b32 v2, 0 :: v_dual_and_b32 v3, 15, v0
	s_delay_alu instid0(VALU_DEP_2)
	v_xor_b32_e32 v6, 8, v5
	v_xor_b32_e32 v7, 4, v5
	;; [unrolled: 1-line block ×4, first 2 shown]
	v_mul_lo_u32 v0, s16, v1
	v_cmp_gt_i32_e32 vcc_lo, 32, v6
	v_mul_lo_u32 v11, s16, v3
	s_mov_b32 s17, 0
	s_mul_i32 s27, s22, s16
	v_cndmask_b32_e32 v6, v5, v6, vcc_lo
	v_cmp_gt_i32_e32 vcc_lo, 32, v7
	v_mov_b32_e32 v4, v2
	s_wait_kmcnt 0x0
	s_add_nc_u64 s[24:25], s[4:5], s[20:21]
	s_load_b32 s13, s[24:25], 0x0
	s_clause 0x1
	s_load_b64 s[4:5], s[0:1], 0x58
	s_load_b64 s[18:19], s[0:1], 0x48
	s_add_nc_u64 s[0:1], s[6:7], s[20:21]
	s_add_nc_u64 s[24:25], s[24:25], 4
	v_cndmask_b32_e32 v7, v5, v7, vcc_lo
	v_cmp_gt_i32_e32 vcc_lo, 32, v8
	s_wait_alu 0xfffd
	s_delay_alu instid0(VALU_DEP_2)
	v_dual_cndmask_b32 v8, v5, v8 :: v_dual_lshlrev_b32 v13, 2, v7
	v_cmp_gt_i32_e32 vcc_lo, 32, v9
	s_wait_alu 0xfffd
	v_dual_cndmask_b32 v5, v5, v9 :: v_dual_lshlrev_b32 v12, 2, v6
	s_wait_kmcnt 0x0
	s_sub_co_i32 s20, s13, s2
	s_cmp_eq_u64 s[6:7], 0
	s_delay_alu instid0(VALU_DEP_1)
	v_lshlrev_b32_e32 v15, 2, v5
	s_cselect_b32 s1, s25, s1
	s_cselect_b32 s0, s24, s0
	v_lshlrev_b32_e32 v14, 2, v8
	s_load_b32 s21, s[0:1], 0x0
	v_cmp_gt_u32_e64 s0, s16, v3
	v_cmp_eq_u32_e64 s1, 15, v3
	s_mul_u64 s[6:7], s[16:17], s[16:17]
	s_wait_kmcnt 0x0
	s_sub_co_i32 s3, s21, s2
	s_cmp_lt_i32 s13, s21
	s_cselect_b32 s13, -1, 0
	s_cmp_lg_u32 s15, 0
	s_cselect_b32 s15, -1, 0
	s_cmp_eq_f32 s14, 0
	s_cselect_b32 s26, -1, 0
	s_ashr_i32 s21, s20, 31
	s_delay_alu instid0(SALU_CYCLE_1)
	s_mul_u64 s[22:23], s[20:21], s[6:7]
	s_lshl_b32 s21, s16, 4
	s_branch .LBB64_11
.LBB64_10:                              ;   in Loop: Header=BB64_11 Depth=1
	s_wait_alu 0xfffe
	s_or_b32 exec_lo, exec_lo, s24
	v_add_nc_u32_e32 v1, 16, v1
	v_add_nc_u32_e32 v0, s21, v0
	s_delay_alu instid0(VALU_DEP_2)
	v_cmp_le_i32_e32 vcc_lo, s16, v1
	s_or_b32 s17, vcc_lo, s17
	s_wait_alu 0xfffe
	s_and_not1_b32 exec_lo, exec_lo, s17
	s_cbranch_execz .LBB64_27
.LBB64_11:                              ; =>This Loop Header: Depth=1
                                        ;     Child Loop BB64_15 Depth 2
                                        ;       Child Loop BB64_18 Depth 3
	v_mov_b32_e32 v16, 0
	s_and_not1_b32 vcc_lo, exec_lo, s13
	s_wait_alu 0xfffe
	s_cbranch_vccnz .LBB64_22
; %bb.12:                               ;   in Loop: Header=BB64_11 Depth=1
	v_ashrrev_i32_e32 v5, 31, v0
	v_add_co_u32 v17, vcc_lo, s22, v0
	v_mov_b32_e32 v16, 0
	s_mov_b32 s24, s20
	s_wait_alu 0xfffd
	v_add_co_ci_u32_e64 v18, null, s23, v5, vcc_lo
	s_branch .LBB64_15
.LBB64_13:                              ;   in Loop: Header=BB64_15 Depth=2
	s_or_b32 exec_lo, exec_lo, s25
.LBB64_14:                              ;   in Loop: Header=BB64_15 Depth=2
	s_wait_alu 0xfffe
	s_or_b32 exec_lo, exec_lo, s28
	v_add_co_u32 v17, vcc_lo, v17, s6
	s_wait_alu 0xfffd
	v_add_co_ci_u32_e64 v18, null, s7, v18, vcc_lo
	s_add_co_i32 s24, s24, 1
	s_wait_alu 0xfffe
	s_cmp_ge_i32 s24, s3
	s_cbranch_scc1 .LBB64_22
.LBB64_15:                              ;   Parent Loop BB64_11 Depth=1
                                        ; =>  This Loop Header: Depth=2
                                        ;       Child Loop BB64_18 Depth 3
	s_and_saveexec_b32 s28, s0
	s_cbranch_execz .LBB64_14
; %bb.16:                               ;   in Loop: Header=BB64_15 Depth=2
	s_wait_alu 0xfffe
	s_ashr_i32 s25, s24, 31
	s_wait_dscnt 0x0
	v_mad_co_u64_u32 v[5:6], null, s6, s24, v[1:2]
	s_wait_alu 0xfffe
	s_lshl_b64 s[30:31], s[24:25], 2
	s_mul_i32 s25, s6, s25
	s_wait_alu 0xfffe
	s_add_nc_u64 s[30:31], s[8:9], s[30:31]
	v_dual_mov_b32 v19, v11 :: v_dual_mov_b32 v8, v4
	s_load_b32 s29, s[30:31], 0x0
	s_mul_i32 s30, s7, s24
	v_mov_b32_e32 v7, v3
	s_wait_alu 0xfffe
	v_add3_u32 v6, s25, s30, v6
	s_wait_kmcnt 0x0
	s_sub_co_i32 s25, s29, s2
	s_wait_alu 0xfffe
	s_mul_i32 s29, s25, s16
	s_mov_b32 s25, 0
	s_branch .LBB64_18
.LBB64_17:                              ;   in Loop: Header=BB64_18 Depth=3
	v_add_nc_u32_e32 v20, s29, v7
	s_delay_alu instid0(VALU_DEP_2) | instskip(SKIP_1) | instid1(VALU_DEP_3)
	v_lshlrev_b64_e32 v[9:10], 1, v[9:10]
	v_add_nc_u32_e32 v19, s21, v19
	v_ashrrev_i32_e32 v21, 31, v20
	s_delay_alu instid0(VALU_DEP_3) | instskip(SKIP_1) | instid1(VALU_DEP_4)
	v_add_co_u32 v9, vcc_lo, s10, v9
	s_wait_alu 0xfffd
	v_add_co_ci_u32_e64 v10, null, s11, v10, vcc_lo
	s_delay_alu instid0(VALU_DEP_3) | instskip(NEXT) | instid1(VALU_DEP_1)
	v_lshlrev_b64_e32 v[20:21], 1, v[20:21]
	v_add_co_u32 v20, vcc_lo, s18, v20
	s_wait_alu 0xfffd
	s_delay_alu instid0(VALU_DEP_2)
	v_add_co_ci_u32_e64 v21, null, s19, v21, vcc_lo
	global_load_u16 v9, v[9:10], off
	global_load_u16 v10, v[20:21], off
	v_add_co_u32 v7, vcc_lo, v7, 16
	s_wait_alu 0xfffd
	v_add_co_ci_u32_e64 v8, null, 0, v8, vcc_lo
	s_delay_alu instid0(VALU_DEP_2)
	v_cmp_le_i32_e32 vcc_lo, s16, v7
	s_or_b32 s25, vcc_lo, s25
	s_wait_loadcnt 0x1
	v_lshlrev_b32_e32 v9, 16, v9
	s_wait_loadcnt 0x0
	v_lshlrev_b32_e32 v10, 16, v10
	s_delay_alu instid0(VALU_DEP_1)
	v_fmac_f32_e32 v16, v9, v10
	s_wait_alu 0xfffe
	s_and_not1_b32 exec_lo, exec_lo, s25
	s_cbranch_execz .LBB64_13
.LBB64_18:                              ;   Parent Loop BB64_11 Depth=1
                                        ;     Parent Loop BB64_15 Depth=2
                                        ; =>    This Inner Loop Header: Depth=3
	s_and_b32 vcc_lo, exec_lo, s15
	s_wait_alu 0xfffe
	s_cbranch_vccz .LBB64_20
; %bb.19:                               ;   in Loop: Header=BB64_18 Depth=3
	v_ashrrev_i32_e32 v10, 31, v19
	v_add_co_u32 v9, vcc_lo, v5, v19
	s_wait_alu 0xfffd
	s_delay_alu instid0(VALU_DEP_2)
	v_add_co_ci_u32_e64 v10, null, v6, v10, vcc_lo
	s_cbranch_execnz .LBB64_17
	s_branch .LBB64_21
.LBB64_20:                              ;   in Loop: Header=BB64_18 Depth=3
                                        ; implicit-def: $vgpr9_vgpr10
.LBB64_21:                              ;   in Loop: Header=BB64_18 Depth=3
	v_add_co_u32 v9, vcc_lo, v17, v7
	s_wait_alu 0xfffd
	v_add_co_ci_u32_e64 v10, null, v18, v8, vcc_lo
	s_branch .LBB64_17
.LBB64_22:                              ;   in Loop: Header=BB64_11 Depth=1
	ds_bpermute_b32 v5, v12, v16
	s_wait_dscnt 0x0
	v_add_f32_e32 v5, v16, v5
	ds_bpermute_b32 v6, v13, v5
	s_wait_dscnt 0x0
	v_add_f32_e32 v5, v5, v6
	;; [unrolled: 3-line block ×3, first 2 shown]
	ds_bpermute_b32 v6, v15, v5
	s_and_saveexec_b32 s24, s1
	s_cbranch_execz .LBB64_10
; %bb.23:                               ;   in Loop: Header=BB64_11 Depth=1
	s_wait_dscnt 0x0
	v_dual_add_f32 v6, v5, v6 :: v_dual_add_nc_u32 v5, s27, v1
	s_and_b32 vcc_lo, exec_lo, s26
	s_delay_alu instid0(VALU_DEP_1) | instskip(NEXT) | instid1(VALU_DEP_2)
	v_mul_f32_e32 v7, s12, v6
	v_ashrrev_i32_e32 v6, 31, v5
	s_wait_alu 0xfffe
	s_cbranch_vccz .LBB64_25
; %bb.24:                               ;   in Loop: Header=BB64_11 Depth=1
	s_delay_alu instid0(VALU_DEP_1) | instskip(NEXT) | instid1(VALU_DEP_1)
	v_lshlrev_b64_e32 v[8:9], 2, v[5:6]
	v_add_co_u32 v8, vcc_lo, s4, v8
	s_wait_alu 0xfffd
	s_delay_alu instid0(VALU_DEP_2)
	v_add_co_ci_u32_e64 v9, null, s5, v9, vcc_lo
	global_store_b32 v[8:9], v7, off
	s_cbranch_execnz .LBB64_10
	s_branch .LBB64_26
.LBB64_25:                              ;   in Loop: Header=BB64_11 Depth=1
.LBB64_26:                              ;   in Loop: Header=BB64_11 Depth=1
	s_delay_alu instid0(VALU_DEP_1) | instskip(NEXT) | instid1(VALU_DEP_1)
	v_lshlrev_b64_e32 v[5:6], 2, v[5:6]
	v_add_co_u32 v5, vcc_lo, s4, v5
	s_wait_alu 0xfffd
	s_delay_alu instid0(VALU_DEP_2)
	v_add_co_ci_u32_e64 v6, null, s5, v6, vcc_lo
	global_load_b32 v8, v[5:6], off
	s_wait_loadcnt 0x0
	v_fmac_f32_e32 v7, s14, v8
	global_store_b32 v[5:6], v7, off
	s_branch .LBB64_10
.LBB64_27:
	s_endpgm
	.section	.rodata,"a",@progbits
	.p2align	6, 0x0
	.amdhsa_kernel _ZN9rocsparseL22bsrxmvn_general_kernelILj256ELj16Efii18rocsparse_bfloat16S1_fEEv20rocsparse_direction_NS_24const_host_device_scalarIT1_EET3_PKS6_PKT2_SB_S8_PKT4_S6_PKT5_S5_PT6_21rocsparse_index_base_b
		.amdhsa_group_segment_fixed_size 0
		.amdhsa_private_segment_fixed_size 0
		.amdhsa_kernarg_size 104
		.amdhsa_user_sgpr_count 2
		.amdhsa_user_sgpr_dispatch_ptr 0
		.amdhsa_user_sgpr_queue_ptr 0
		.amdhsa_user_sgpr_kernarg_segment_ptr 1
		.amdhsa_user_sgpr_dispatch_id 0
		.amdhsa_user_sgpr_private_segment_size 0
		.amdhsa_wavefront_size32 1
		.amdhsa_uses_dynamic_stack 0
		.amdhsa_enable_private_segment 0
		.amdhsa_system_sgpr_workgroup_id_x 1
		.amdhsa_system_sgpr_workgroup_id_y 0
		.amdhsa_system_sgpr_workgroup_id_z 0
		.amdhsa_system_sgpr_workgroup_info 0
		.amdhsa_system_vgpr_workitem_id 0
		.amdhsa_next_free_vgpr 22
		.amdhsa_next_free_sgpr 32
		.amdhsa_reserve_vcc 1
		.amdhsa_float_round_mode_32 0
		.amdhsa_float_round_mode_16_64 0
		.amdhsa_float_denorm_mode_32 3
		.amdhsa_float_denorm_mode_16_64 3
		.amdhsa_fp16_overflow 0
		.amdhsa_workgroup_processor_mode 1
		.amdhsa_memory_ordered 1
		.amdhsa_forward_progress 1
		.amdhsa_inst_pref_size 10
		.amdhsa_round_robin_scheduling 0
		.amdhsa_exception_fp_ieee_invalid_op 0
		.amdhsa_exception_fp_denorm_src 0
		.amdhsa_exception_fp_ieee_div_zero 0
		.amdhsa_exception_fp_ieee_overflow 0
		.amdhsa_exception_fp_ieee_underflow 0
		.amdhsa_exception_fp_ieee_inexact 0
		.amdhsa_exception_int_div_zero 0
	.end_amdhsa_kernel
	.section	.text._ZN9rocsparseL22bsrxmvn_general_kernelILj256ELj16Efii18rocsparse_bfloat16S1_fEEv20rocsparse_direction_NS_24const_host_device_scalarIT1_EET3_PKS6_PKT2_SB_S8_PKT4_S6_PKT5_S5_PT6_21rocsparse_index_base_b,"axG",@progbits,_ZN9rocsparseL22bsrxmvn_general_kernelILj256ELj16Efii18rocsparse_bfloat16S1_fEEv20rocsparse_direction_NS_24const_host_device_scalarIT1_EET3_PKS6_PKT2_SB_S8_PKT4_S6_PKT5_S5_PT6_21rocsparse_index_base_b,comdat
.Lfunc_end64:
	.size	_ZN9rocsparseL22bsrxmvn_general_kernelILj256ELj16Efii18rocsparse_bfloat16S1_fEEv20rocsparse_direction_NS_24const_host_device_scalarIT1_EET3_PKS6_PKT2_SB_S8_PKT4_S6_PKT5_S5_PT6_21rocsparse_index_base_b, .Lfunc_end64-_ZN9rocsparseL22bsrxmvn_general_kernelILj256ELj16Efii18rocsparse_bfloat16S1_fEEv20rocsparse_direction_NS_24const_host_device_scalarIT1_EET3_PKS6_PKT2_SB_S8_PKT4_S6_PKT5_S5_PT6_21rocsparse_index_base_b
                                        ; -- End function
	.set _ZN9rocsparseL22bsrxmvn_general_kernelILj256ELj16Efii18rocsparse_bfloat16S1_fEEv20rocsparse_direction_NS_24const_host_device_scalarIT1_EET3_PKS6_PKT2_SB_S8_PKT4_S6_PKT5_S5_PT6_21rocsparse_index_base_b.num_vgpr, 22
	.set _ZN9rocsparseL22bsrxmvn_general_kernelILj256ELj16Efii18rocsparse_bfloat16S1_fEEv20rocsparse_direction_NS_24const_host_device_scalarIT1_EET3_PKS6_PKT2_SB_S8_PKT4_S6_PKT5_S5_PT6_21rocsparse_index_base_b.num_agpr, 0
	.set _ZN9rocsparseL22bsrxmvn_general_kernelILj256ELj16Efii18rocsparse_bfloat16S1_fEEv20rocsparse_direction_NS_24const_host_device_scalarIT1_EET3_PKS6_PKT2_SB_S8_PKT4_S6_PKT5_S5_PT6_21rocsparse_index_base_b.numbered_sgpr, 32
	.set _ZN9rocsparseL22bsrxmvn_general_kernelILj256ELj16Efii18rocsparse_bfloat16S1_fEEv20rocsparse_direction_NS_24const_host_device_scalarIT1_EET3_PKS6_PKT2_SB_S8_PKT4_S6_PKT5_S5_PT6_21rocsparse_index_base_b.num_named_barrier, 0
	.set _ZN9rocsparseL22bsrxmvn_general_kernelILj256ELj16Efii18rocsparse_bfloat16S1_fEEv20rocsparse_direction_NS_24const_host_device_scalarIT1_EET3_PKS6_PKT2_SB_S8_PKT4_S6_PKT5_S5_PT6_21rocsparse_index_base_b.private_seg_size, 0
	.set _ZN9rocsparseL22bsrxmvn_general_kernelILj256ELj16Efii18rocsparse_bfloat16S1_fEEv20rocsparse_direction_NS_24const_host_device_scalarIT1_EET3_PKS6_PKT2_SB_S8_PKT4_S6_PKT5_S5_PT6_21rocsparse_index_base_b.uses_vcc, 1
	.set _ZN9rocsparseL22bsrxmvn_general_kernelILj256ELj16Efii18rocsparse_bfloat16S1_fEEv20rocsparse_direction_NS_24const_host_device_scalarIT1_EET3_PKS6_PKT2_SB_S8_PKT4_S6_PKT5_S5_PT6_21rocsparse_index_base_b.uses_flat_scratch, 0
	.set _ZN9rocsparseL22bsrxmvn_general_kernelILj256ELj16Efii18rocsparse_bfloat16S1_fEEv20rocsparse_direction_NS_24const_host_device_scalarIT1_EET3_PKS6_PKT2_SB_S8_PKT4_S6_PKT5_S5_PT6_21rocsparse_index_base_b.has_dyn_sized_stack, 0
	.set _ZN9rocsparseL22bsrxmvn_general_kernelILj256ELj16Efii18rocsparse_bfloat16S1_fEEv20rocsparse_direction_NS_24const_host_device_scalarIT1_EET3_PKS6_PKT2_SB_S8_PKT4_S6_PKT5_S5_PT6_21rocsparse_index_base_b.has_recursion, 0
	.set _ZN9rocsparseL22bsrxmvn_general_kernelILj256ELj16Efii18rocsparse_bfloat16S1_fEEv20rocsparse_direction_NS_24const_host_device_scalarIT1_EET3_PKS6_PKT2_SB_S8_PKT4_S6_PKT5_S5_PT6_21rocsparse_index_base_b.has_indirect_call, 0
	.section	.AMDGPU.csdata,"",@progbits
; Kernel info:
; codeLenInByte = 1224
; TotalNumSgprs: 34
; NumVgprs: 22
; ScratchSize: 0
; MemoryBound: 0
; FloatMode: 240
; IeeeMode: 1
; LDSByteSize: 0 bytes/workgroup (compile time only)
; SGPRBlocks: 0
; VGPRBlocks: 2
; NumSGPRsForWavesPerEU: 34
; NumVGPRsForWavesPerEU: 22
; Occupancy: 16
; WaveLimiterHint : 1
; COMPUTE_PGM_RSRC2:SCRATCH_EN: 0
; COMPUTE_PGM_RSRC2:USER_SGPR: 2
; COMPUTE_PGM_RSRC2:TRAP_HANDLER: 0
; COMPUTE_PGM_RSRC2:TGID_X_EN: 1
; COMPUTE_PGM_RSRC2:TGID_Y_EN: 0
; COMPUTE_PGM_RSRC2:TGID_Z_EN: 0
; COMPUTE_PGM_RSRC2:TIDIG_COMP_CNT: 0
	.section	.text._ZN9rocsparseL22bsrxmvn_general_kernelILj1024ELj32Efii18rocsparse_bfloat16S1_fEEv20rocsparse_direction_NS_24const_host_device_scalarIT1_EET3_PKS6_PKT2_SB_S8_PKT4_S6_PKT5_S5_PT6_21rocsparse_index_base_b,"axG",@progbits,_ZN9rocsparseL22bsrxmvn_general_kernelILj1024ELj32Efii18rocsparse_bfloat16S1_fEEv20rocsparse_direction_NS_24const_host_device_scalarIT1_EET3_PKS6_PKT2_SB_S8_PKT4_S6_PKT5_S5_PT6_21rocsparse_index_base_b,comdat
	.globl	_ZN9rocsparseL22bsrxmvn_general_kernelILj1024ELj32Efii18rocsparse_bfloat16S1_fEEv20rocsparse_direction_NS_24const_host_device_scalarIT1_EET3_PKS6_PKT2_SB_S8_PKT4_S6_PKT5_S5_PT6_21rocsparse_index_base_b ; -- Begin function _ZN9rocsparseL22bsrxmvn_general_kernelILj1024ELj32Efii18rocsparse_bfloat16S1_fEEv20rocsparse_direction_NS_24const_host_device_scalarIT1_EET3_PKS6_PKT2_SB_S8_PKT4_S6_PKT5_S5_PT6_21rocsparse_index_base_b
	.p2align	8
	.type	_ZN9rocsparseL22bsrxmvn_general_kernelILj1024ELj32Efii18rocsparse_bfloat16S1_fEEv20rocsparse_direction_NS_24const_host_device_scalarIT1_EET3_PKS6_PKT2_SB_S8_PKT4_S6_PKT5_S5_PT6_21rocsparse_index_base_b,@function
_ZN9rocsparseL22bsrxmvn_general_kernelILj1024ELj32Efii18rocsparse_bfloat16S1_fEEv20rocsparse_direction_NS_24const_host_device_scalarIT1_EET3_PKS6_PKT2_SB_S8_PKT4_S6_PKT5_S5_PT6_21rocsparse_index_base_b: ; @_ZN9rocsparseL22bsrxmvn_general_kernelILj1024ELj32Efii18rocsparse_bfloat16S1_fEEv20rocsparse_direction_NS_24const_host_device_scalarIT1_EET3_PKS6_PKT2_SB_S8_PKT4_S6_PKT5_S5_PT6_21rocsparse_index_base_b
; %bb.0:
	s_clause 0x2
	s_load_b64 s[2:3], s[0:1], 0x60
	s_load_b64 s[12:13], s[0:1], 0x8
	;; [unrolled: 1-line block ×3, first 2 shown]
	s_wait_kmcnt 0x0
	s_bitcmp1_b32 s3, 0
	s_cselect_b32 s3, -1, 0
	s_delay_alu instid0(SALU_CYCLE_1)
	s_and_b32 vcc_lo, exec_lo, s3
	s_xor_b32 s3, s3, -1
	s_cbranch_vccnz .LBB65_2
; %bb.1:
	s_load_b32 s12, s[12:13], 0x0
.LBB65_2:
	s_and_not1_b32 vcc_lo, exec_lo, s3
	s_cbranch_vccnz .LBB65_4
; %bb.3:
	s_load_b32 s14, s[14:15], 0x0
.LBB65_4:
	s_wait_kmcnt 0x0
	s_cmp_neq_f32 s12, 0
	s_cselect_b32 s3, -1, 0
	s_cmp_neq_f32 s14, 1.0
	s_cselect_b32 s4, -1, 0
	s_delay_alu instid0(SALU_CYCLE_1) | instskip(NEXT) | instid1(SALU_CYCLE_1)
	s_or_b32 s3, s3, s4
	s_and_not1_b32 vcc_lo, exec_lo, s3
	s_cbranch_vccnz .LBB65_27
; %bb.5:
	s_load_b64 s[4:5], s[0:1], 0x18
	s_wait_kmcnt 0x0
	s_cmp_eq_u64 s[4:5], 0
	s_cbranch_scc1 .LBB65_7
; %bb.6:
	s_mov_b32 s6, ttmp9
	s_ashr_i32 s7, ttmp9, 31
	s_delay_alu instid0(SALU_CYCLE_1) | instskip(NEXT) | instid1(SALU_CYCLE_1)
	s_lshl_b64 s[6:7], s[6:7], 2
	s_add_nc_u64 s[4:5], s[4:5], s[6:7]
	s_load_b32 s3, s[4:5], 0x0
	s_wait_kmcnt 0x0
	s_sub_co_i32 s22, s3, s2
	s_branch .LBB65_8
.LBB65_7:
	s_mov_b32 s22, ttmp9
.LBB65_8:
	s_load_b32 s16, s[0:1], 0x40
	v_lshrrev_b32_e32 v1, 5, v0
	s_mov_b32 s3, exec_lo
	s_wait_kmcnt 0x0
	s_delay_alu instid0(VALU_DEP_1)
	v_cmpx_gt_i32_e64 s16, v1
	s_cbranch_execz .LBB65_27
; %bb.9:
	s_load_b256 s[4:11], s[0:1], 0x20
	s_ashr_i32 s23, s22, 31
	v_mbcnt_lo_u32_b32 v5, -1, 0
	s_lshl_b64 s[20:21], s[22:23], 2
	s_load_b32 s15, s[0:1], 0x0
	v_dual_mov_b32 v2, 0 :: v_dual_and_b32 v3, 31, v0
	s_delay_alu instid0(VALU_DEP_2)
	v_xor_b32_e32 v6, 16, v5
	v_xor_b32_e32 v7, 8, v5
	;; [unrolled: 1-line block ×5, first 2 shown]
	v_cmp_gt_i32_e32 vcc_lo, 32, v6
	v_mul_lo_u32 v0, s16, v1
	v_mul_lo_u32 v11, s16, v3
	s_mov_b32 s17, 0
	s_mul_i32 s27, s22, s16
	v_cndmask_b32_e32 v6, v5, v6, vcc_lo
	v_cmp_gt_i32_e32 vcc_lo, 32, v7
	v_mov_b32_e32 v4, v2
	s_wait_kmcnt 0x0
	s_add_nc_u64 s[24:25], s[4:5], s[20:21]
	s_load_b32 s13, s[24:25], 0x0
	s_clause 0x1
	s_load_b64 s[4:5], s[0:1], 0x58
	s_load_b64 s[18:19], s[0:1], 0x48
	s_add_nc_u64 s[0:1], s[6:7], s[20:21]
	s_add_nc_u64 s[24:25], s[24:25], 4
	v_cndmask_b32_e32 v7, v5, v7, vcc_lo
	v_cmp_gt_i32_e32 vcc_lo, 32, v8
	s_wait_alu 0xfffd
	s_delay_alu instid0(VALU_DEP_2)
	v_dual_cndmask_b32 v8, v5, v8 :: v_dual_lshlrev_b32 v13, 2, v7
	v_cmp_gt_i32_e32 vcc_lo, 32, v9
	s_wait_alu 0xfffd
	v_dual_cndmask_b32 v9, v5, v9 :: v_dual_lshlrev_b32 v12, 2, v6
	v_cmp_gt_i32_e32 vcc_lo, 32, v10
	s_wait_kmcnt 0x0
	s_sub_co_i32 s20, s13, s2
	s_cmp_eq_u64 s[6:7], 0
	v_lshlrev_b32_e32 v15, 2, v9
	s_cselect_b32 s25, s25, s1
	s_cselect_b32 s24, s24, s0
	s_wait_alu 0xfffd
	v_dual_cndmask_b32 v5, v5, v10 :: v_dual_lshlrev_b32 v14, 2, v8
	s_load_b32 s21, s[24:25], 0x0
	v_cmp_gt_u32_e64 s0, s16, v3
	v_cmp_eq_u32_e64 s1, 31, v3
	s_delay_alu instid0(VALU_DEP_3)
	v_lshlrev_b32_e32 v16, 2, v5
	s_mul_u64 s[6:7], s[16:17], s[16:17]
	s_wait_kmcnt 0x0
	s_sub_co_i32 s3, s21, s2
	s_cmp_lt_i32 s13, s21
	s_cselect_b32 s13, -1, 0
	s_cmp_lg_u32 s15, 0
	s_cselect_b32 s15, -1, 0
	s_cmp_eq_f32 s14, 0
	s_cselect_b32 s26, -1, 0
	s_ashr_i32 s21, s20, 31
	s_delay_alu instid0(SALU_CYCLE_1)
	s_mul_u64 s[22:23], s[20:21], s[6:7]
	s_lshl_b32 s21, s16, 5
	s_branch .LBB65_11
.LBB65_10:                              ;   in Loop: Header=BB65_11 Depth=1
	s_wait_alu 0xfffe
	s_or_b32 exec_lo, exec_lo, s24
	v_add_nc_u32_e32 v1, 32, v1
	v_add_nc_u32_e32 v0, s21, v0
	s_delay_alu instid0(VALU_DEP_2)
	v_cmp_le_i32_e32 vcc_lo, s16, v1
	s_or_b32 s17, vcc_lo, s17
	s_wait_alu 0xfffe
	s_and_not1_b32 exec_lo, exec_lo, s17
	s_cbranch_execz .LBB65_27
.LBB65_11:                              ; =>This Loop Header: Depth=1
                                        ;     Child Loop BB65_15 Depth 2
                                        ;       Child Loop BB65_18 Depth 3
	v_mov_b32_e32 v17, 0
	s_and_not1_b32 vcc_lo, exec_lo, s13
	s_wait_alu 0xfffe
	s_cbranch_vccnz .LBB65_22
; %bb.12:                               ;   in Loop: Header=BB65_11 Depth=1
	v_ashrrev_i32_e32 v5, 31, v0
	v_add_co_u32 v18, vcc_lo, s22, v0
	v_mov_b32_e32 v17, 0
	s_mov_b32 s24, s20
	s_wait_alu 0xfffd
	v_add_co_ci_u32_e64 v19, null, s23, v5, vcc_lo
	s_branch .LBB65_15
.LBB65_13:                              ;   in Loop: Header=BB65_15 Depth=2
	s_or_b32 exec_lo, exec_lo, s25
.LBB65_14:                              ;   in Loop: Header=BB65_15 Depth=2
	s_wait_alu 0xfffe
	s_or_b32 exec_lo, exec_lo, s28
	v_add_co_u32 v18, vcc_lo, v18, s6
	s_wait_alu 0xfffd
	v_add_co_ci_u32_e64 v19, null, s7, v19, vcc_lo
	s_add_co_i32 s24, s24, 1
	s_wait_alu 0xfffe
	s_cmp_ge_i32 s24, s3
	s_cbranch_scc1 .LBB65_22
.LBB65_15:                              ;   Parent Loop BB65_11 Depth=1
                                        ; =>  This Loop Header: Depth=2
                                        ;       Child Loop BB65_18 Depth 3
	s_and_saveexec_b32 s28, s0
	s_cbranch_execz .LBB65_14
; %bb.16:                               ;   in Loop: Header=BB65_15 Depth=2
	s_wait_alu 0xfffe
	s_ashr_i32 s25, s24, 31
	s_wait_dscnt 0x0
	v_mad_co_u64_u32 v[5:6], null, s6, s24, v[1:2]
	s_wait_alu 0xfffe
	s_lshl_b64 s[30:31], s[24:25], 2
	s_mul_i32 s25, s6, s25
	s_wait_alu 0xfffe
	s_add_nc_u64 s[30:31], s[8:9], s[30:31]
	v_mov_b32_e32 v8, v4
	s_load_b32 s29, s[30:31], 0x0
	s_mul_i32 s30, s7, s24
	v_dual_mov_b32 v20, v11 :: v_dual_mov_b32 v7, v3
	s_wait_alu 0xfffe
	v_add3_u32 v6, s25, s30, v6
	s_wait_kmcnt 0x0
	s_sub_co_i32 s25, s29, s2
	s_wait_alu 0xfffe
	s_mul_i32 s29, s25, s16
	s_mov_b32 s25, 0
	s_branch .LBB65_18
.LBB65_17:                              ;   in Loop: Header=BB65_18 Depth=3
	v_add_nc_u32_e32 v21, s29, v7
	s_delay_alu instid0(VALU_DEP_2) | instskip(SKIP_1) | instid1(VALU_DEP_3)
	v_lshlrev_b64_e32 v[9:10], 1, v[9:10]
	v_add_nc_u32_e32 v20, s21, v20
	v_ashrrev_i32_e32 v22, 31, v21
	s_delay_alu instid0(VALU_DEP_3) | instskip(SKIP_1) | instid1(VALU_DEP_4)
	v_add_co_u32 v9, vcc_lo, s10, v9
	s_wait_alu 0xfffd
	v_add_co_ci_u32_e64 v10, null, s11, v10, vcc_lo
	s_delay_alu instid0(VALU_DEP_3) | instskip(NEXT) | instid1(VALU_DEP_1)
	v_lshlrev_b64_e32 v[21:22], 1, v[21:22]
	v_add_co_u32 v21, vcc_lo, s18, v21
	s_wait_alu 0xfffd
	s_delay_alu instid0(VALU_DEP_2)
	v_add_co_ci_u32_e64 v22, null, s19, v22, vcc_lo
	global_load_u16 v9, v[9:10], off
	global_load_u16 v10, v[21:22], off
	v_add_co_u32 v7, vcc_lo, v7, 32
	s_wait_alu 0xfffd
	v_add_co_ci_u32_e64 v8, null, 0, v8, vcc_lo
	s_delay_alu instid0(VALU_DEP_2)
	v_cmp_le_i32_e32 vcc_lo, s16, v7
	s_or_b32 s25, vcc_lo, s25
	s_wait_loadcnt 0x1
	v_lshlrev_b32_e32 v9, 16, v9
	s_wait_loadcnt 0x0
	v_lshlrev_b32_e32 v10, 16, v10
	s_delay_alu instid0(VALU_DEP_1)
	v_fmac_f32_e32 v17, v9, v10
	s_wait_alu 0xfffe
	s_and_not1_b32 exec_lo, exec_lo, s25
	s_cbranch_execz .LBB65_13
.LBB65_18:                              ;   Parent Loop BB65_11 Depth=1
                                        ;     Parent Loop BB65_15 Depth=2
                                        ; =>    This Inner Loop Header: Depth=3
	s_and_b32 vcc_lo, exec_lo, s15
	s_wait_alu 0xfffe
	s_cbranch_vccz .LBB65_20
; %bb.19:                               ;   in Loop: Header=BB65_18 Depth=3
	v_ashrrev_i32_e32 v10, 31, v20
	v_add_co_u32 v9, vcc_lo, v5, v20
	s_wait_alu 0xfffd
	s_delay_alu instid0(VALU_DEP_2)
	v_add_co_ci_u32_e64 v10, null, v6, v10, vcc_lo
	s_cbranch_execnz .LBB65_17
	s_branch .LBB65_21
.LBB65_20:                              ;   in Loop: Header=BB65_18 Depth=3
                                        ; implicit-def: $vgpr9_vgpr10
.LBB65_21:                              ;   in Loop: Header=BB65_18 Depth=3
	v_add_co_u32 v9, vcc_lo, v18, v7
	s_wait_alu 0xfffd
	v_add_co_ci_u32_e64 v10, null, v19, v8, vcc_lo
	s_branch .LBB65_17
.LBB65_22:                              ;   in Loop: Header=BB65_11 Depth=1
	ds_bpermute_b32 v5, v12, v17
	s_wait_dscnt 0x0
	v_add_f32_e32 v5, v17, v5
	ds_bpermute_b32 v6, v13, v5
	s_wait_dscnt 0x0
	v_add_f32_e32 v5, v5, v6
	;; [unrolled: 3-line block ×4, first 2 shown]
	ds_bpermute_b32 v6, v16, v5
	s_and_saveexec_b32 s24, s1
	s_cbranch_execz .LBB65_10
; %bb.23:                               ;   in Loop: Header=BB65_11 Depth=1
	s_wait_dscnt 0x0
	v_dual_add_f32 v6, v5, v6 :: v_dual_add_nc_u32 v5, s27, v1
	s_and_b32 vcc_lo, exec_lo, s26
	s_delay_alu instid0(VALU_DEP_1) | instskip(NEXT) | instid1(VALU_DEP_2)
	v_mul_f32_e32 v7, s12, v6
	v_ashrrev_i32_e32 v6, 31, v5
	s_wait_alu 0xfffe
	s_cbranch_vccz .LBB65_25
; %bb.24:                               ;   in Loop: Header=BB65_11 Depth=1
	s_delay_alu instid0(VALU_DEP_1) | instskip(NEXT) | instid1(VALU_DEP_1)
	v_lshlrev_b64_e32 v[8:9], 2, v[5:6]
	v_add_co_u32 v8, vcc_lo, s4, v8
	s_wait_alu 0xfffd
	s_delay_alu instid0(VALU_DEP_2)
	v_add_co_ci_u32_e64 v9, null, s5, v9, vcc_lo
	global_store_b32 v[8:9], v7, off
	s_cbranch_execnz .LBB65_10
	s_branch .LBB65_26
.LBB65_25:                              ;   in Loop: Header=BB65_11 Depth=1
.LBB65_26:                              ;   in Loop: Header=BB65_11 Depth=1
	s_delay_alu instid0(VALU_DEP_1) | instskip(NEXT) | instid1(VALU_DEP_1)
	v_lshlrev_b64_e32 v[5:6], 2, v[5:6]
	v_add_co_u32 v5, vcc_lo, s4, v5
	s_wait_alu 0xfffd
	s_delay_alu instid0(VALU_DEP_2)
	v_add_co_ci_u32_e64 v6, null, s5, v6, vcc_lo
	global_load_b32 v8, v[5:6], off
	s_wait_loadcnt 0x0
	v_fmac_f32_e32 v7, s14, v8
	global_store_b32 v[5:6], v7, off
	s_branch .LBB65_10
.LBB65_27:
	s_endpgm
	.section	.rodata,"a",@progbits
	.p2align	6, 0x0
	.amdhsa_kernel _ZN9rocsparseL22bsrxmvn_general_kernelILj1024ELj32Efii18rocsparse_bfloat16S1_fEEv20rocsparse_direction_NS_24const_host_device_scalarIT1_EET3_PKS6_PKT2_SB_S8_PKT4_S6_PKT5_S5_PT6_21rocsparse_index_base_b
		.amdhsa_group_segment_fixed_size 0
		.amdhsa_private_segment_fixed_size 0
		.amdhsa_kernarg_size 104
		.amdhsa_user_sgpr_count 2
		.amdhsa_user_sgpr_dispatch_ptr 0
		.amdhsa_user_sgpr_queue_ptr 0
		.amdhsa_user_sgpr_kernarg_segment_ptr 1
		.amdhsa_user_sgpr_dispatch_id 0
		.amdhsa_user_sgpr_private_segment_size 0
		.amdhsa_wavefront_size32 1
		.amdhsa_uses_dynamic_stack 0
		.amdhsa_enable_private_segment 0
		.amdhsa_system_sgpr_workgroup_id_x 1
		.amdhsa_system_sgpr_workgroup_id_y 0
		.amdhsa_system_sgpr_workgroup_id_z 0
		.amdhsa_system_sgpr_workgroup_info 0
		.amdhsa_system_vgpr_workitem_id 0
		.amdhsa_next_free_vgpr 23
		.amdhsa_next_free_sgpr 32
		.amdhsa_reserve_vcc 1
		.amdhsa_float_round_mode_32 0
		.amdhsa_float_round_mode_16_64 0
		.amdhsa_float_denorm_mode_32 3
		.amdhsa_float_denorm_mode_16_64 3
		.amdhsa_fp16_overflow 0
		.amdhsa_workgroup_processor_mode 1
		.amdhsa_memory_ordered 1
		.amdhsa_forward_progress 1
		.amdhsa_inst_pref_size 10
		.amdhsa_round_robin_scheduling 0
		.amdhsa_exception_fp_ieee_invalid_op 0
		.amdhsa_exception_fp_denorm_src 0
		.amdhsa_exception_fp_ieee_div_zero 0
		.amdhsa_exception_fp_ieee_overflow 0
		.amdhsa_exception_fp_ieee_underflow 0
		.amdhsa_exception_fp_ieee_inexact 0
		.amdhsa_exception_int_div_zero 0
	.end_amdhsa_kernel
	.section	.text._ZN9rocsparseL22bsrxmvn_general_kernelILj1024ELj32Efii18rocsparse_bfloat16S1_fEEv20rocsparse_direction_NS_24const_host_device_scalarIT1_EET3_PKS6_PKT2_SB_S8_PKT4_S6_PKT5_S5_PT6_21rocsparse_index_base_b,"axG",@progbits,_ZN9rocsparseL22bsrxmvn_general_kernelILj1024ELj32Efii18rocsparse_bfloat16S1_fEEv20rocsparse_direction_NS_24const_host_device_scalarIT1_EET3_PKS6_PKT2_SB_S8_PKT4_S6_PKT5_S5_PT6_21rocsparse_index_base_b,comdat
.Lfunc_end65:
	.size	_ZN9rocsparseL22bsrxmvn_general_kernelILj1024ELj32Efii18rocsparse_bfloat16S1_fEEv20rocsparse_direction_NS_24const_host_device_scalarIT1_EET3_PKS6_PKT2_SB_S8_PKT4_S6_PKT5_S5_PT6_21rocsparse_index_base_b, .Lfunc_end65-_ZN9rocsparseL22bsrxmvn_general_kernelILj1024ELj32Efii18rocsparse_bfloat16S1_fEEv20rocsparse_direction_NS_24const_host_device_scalarIT1_EET3_PKS6_PKT2_SB_S8_PKT4_S6_PKT5_S5_PT6_21rocsparse_index_base_b
                                        ; -- End function
	.set _ZN9rocsparseL22bsrxmvn_general_kernelILj1024ELj32Efii18rocsparse_bfloat16S1_fEEv20rocsparse_direction_NS_24const_host_device_scalarIT1_EET3_PKS6_PKT2_SB_S8_PKT4_S6_PKT5_S5_PT6_21rocsparse_index_base_b.num_vgpr, 23
	.set _ZN9rocsparseL22bsrxmvn_general_kernelILj1024ELj32Efii18rocsparse_bfloat16S1_fEEv20rocsparse_direction_NS_24const_host_device_scalarIT1_EET3_PKS6_PKT2_SB_S8_PKT4_S6_PKT5_S5_PT6_21rocsparse_index_base_b.num_agpr, 0
	.set _ZN9rocsparseL22bsrxmvn_general_kernelILj1024ELj32Efii18rocsparse_bfloat16S1_fEEv20rocsparse_direction_NS_24const_host_device_scalarIT1_EET3_PKS6_PKT2_SB_S8_PKT4_S6_PKT5_S5_PT6_21rocsparse_index_base_b.numbered_sgpr, 32
	.set _ZN9rocsparseL22bsrxmvn_general_kernelILj1024ELj32Efii18rocsparse_bfloat16S1_fEEv20rocsparse_direction_NS_24const_host_device_scalarIT1_EET3_PKS6_PKT2_SB_S8_PKT4_S6_PKT5_S5_PT6_21rocsparse_index_base_b.num_named_barrier, 0
	.set _ZN9rocsparseL22bsrxmvn_general_kernelILj1024ELj32Efii18rocsparse_bfloat16S1_fEEv20rocsparse_direction_NS_24const_host_device_scalarIT1_EET3_PKS6_PKT2_SB_S8_PKT4_S6_PKT5_S5_PT6_21rocsparse_index_base_b.private_seg_size, 0
	.set _ZN9rocsparseL22bsrxmvn_general_kernelILj1024ELj32Efii18rocsparse_bfloat16S1_fEEv20rocsparse_direction_NS_24const_host_device_scalarIT1_EET3_PKS6_PKT2_SB_S8_PKT4_S6_PKT5_S5_PT6_21rocsparse_index_base_b.uses_vcc, 1
	.set _ZN9rocsparseL22bsrxmvn_general_kernelILj1024ELj32Efii18rocsparse_bfloat16S1_fEEv20rocsparse_direction_NS_24const_host_device_scalarIT1_EET3_PKS6_PKT2_SB_S8_PKT4_S6_PKT5_S5_PT6_21rocsparse_index_base_b.uses_flat_scratch, 0
	.set _ZN9rocsparseL22bsrxmvn_general_kernelILj1024ELj32Efii18rocsparse_bfloat16S1_fEEv20rocsparse_direction_NS_24const_host_device_scalarIT1_EET3_PKS6_PKT2_SB_S8_PKT4_S6_PKT5_S5_PT6_21rocsparse_index_base_b.has_dyn_sized_stack, 0
	.set _ZN9rocsparseL22bsrxmvn_general_kernelILj1024ELj32Efii18rocsparse_bfloat16S1_fEEv20rocsparse_direction_NS_24const_host_device_scalarIT1_EET3_PKS6_PKT2_SB_S8_PKT4_S6_PKT5_S5_PT6_21rocsparse_index_base_b.has_recursion, 0
	.set _ZN9rocsparseL22bsrxmvn_general_kernelILj1024ELj32Efii18rocsparse_bfloat16S1_fEEv20rocsparse_direction_NS_24const_host_device_scalarIT1_EET3_PKS6_PKT2_SB_S8_PKT4_S6_PKT5_S5_PT6_21rocsparse_index_base_b.has_indirect_call, 0
	.section	.AMDGPU.csdata,"",@progbits
; Kernel info:
; codeLenInByte = 1260
; TotalNumSgprs: 34
; NumVgprs: 23
; ScratchSize: 0
; MemoryBound: 0
; FloatMode: 240
; IeeeMode: 1
; LDSByteSize: 0 bytes/workgroup (compile time only)
; SGPRBlocks: 0
; VGPRBlocks: 2
; NumSGPRsForWavesPerEU: 34
; NumVGPRsForWavesPerEU: 23
; Occupancy: 16
; WaveLimiterHint : 1
; COMPUTE_PGM_RSRC2:SCRATCH_EN: 0
; COMPUTE_PGM_RSRC2:USER_SGPR: 2
; COMPUTE_PGM_RSRC2:TRAP_HANDLER: 0
; COMPUTE_PGM_RSRC2:TGID_X_EN: 1
; COMPUTE_PGM_RSRC2:TGID_Y_EN: 0
; COMPUTE_PGM_RSRC2:TGID_Z_EN: 0
; COMPUTE_PGM_RSRC2:TIDIG_COMP_CNT: 0
	.section	.text._ZN9rocsparseL22bsrxmvn_general_kernelILj64ELj8Efli18rocsparse_bfloat16S1_fEEv20rocsparse_direction_NS_24const_host_device_scalarIT1_EET3_PKS6_PKT2_SB_S8_PKT4_S6_PKT5_S5_PT6_21rocsparse_index_base_b,"axG",@progbits,_ZN9rocsparseL22bsrxmvn_general_kernelILj64ELj8Efli18rocsparse_bfloat16S1_fEEv20rocsparse_direction_NS_24const_host_device_scalarIT1_EET3_PKS6_PKT2_SB_S8_PKT4_S6_PKT5_S5_PT6_21rocsparse_index_base_b,comdat
	.globl	_ZN9rocsparseL22bsrxmvn_general_kernelILj64ELj8Efli18rocsparse_bfloat16S1_fEEv20rocsparse_direction_NS_24const_host_device_scalarIT1_EET3_PKS6_PKT2_SB_S8_PKT4_S6_PKT5_S5_PT6_21rocsparse_index_base_b ; -- Begin function _ZN9rocsparseL22bsrxmvn_general_kernelILj64ELj8Efli18rocsparse_bfloat16S1_fEEv20rocsparse_direction_NS_24const_host_device_scalarIT1_EET3_PKS6_PKT2_SB_S8_PKT4_S6_PKT5_S5_PT6_21rocsparse_index_base_b
	.p2align	8
	.type	_ZN9rocsparseL22bsrxmvn_general_kernelILj64ELj8Efli18rocsparse_bfloat16S1_fEEv20rocsparse_direction_NS_24const_host_device_scalarIT1_EET3_PKS6_PKT2_SB_S8_PKT4_S6_PKT5_S5_PT6_21rocsparse_index_base_b,@function
_ZN9rocsparseL22bsrxmvn_general_kernelILj64ELj8Efli18rocsparse_bfloat16S1_fEEv20rocsparse_direction_NS_24const_host_device_scalarIT1_EET3_PKS6_PKT2_SB_S8_PKT4_S6_PKT5_S5_PT6_21rocsparse_index_base_b: ; @_ZN9rocsparseL22bsrxmvn_general_kernelILj64ELj8Efli18rocsparse_bfloat16S1_fEEv20rocsparse_direction_NS_24const_host_device_scalarIT1_EET3_PKS6_PKT2_SB_S8_PKT4_S6_PKT5_S5_PT6_21rocsparse_index_base_b
; %bb.0:
	s_clause 0x2
	s_load_b64 s[2:3], s[0:1], 0x60
	s_load_b64 s[12:13], s[0:1], 0x8
	;; [unrolled: 1-line block ×3, first 2 shown]
	s_wait_kmcnt 0x0
	s_bitcmp1_b32 s3, 0
	s_cselect_b32 s3, -1, 0
	s_delay_alu instid0(SALU_CYCLE_1)
	s_and_b32 vcc_lo, exec_lo, s3
	s_xor_b32 s3, s3, -1
	s_cbranch_vccnz .LBB66_2
; %bb.1:
	s_load_b32 s12, s[12:13], 0x0
.LBB66_2:
	s_and_not1_b32 vcc_lo, exec_lo, s3
	s_cbranch_vccnz .LBB66_4
; %bb.3:
	s_load_b32 s14, s[14:15], 0x0
.LBB66_4:
	s_wait_kmcnt 0x0
	s_cmp_neq_f32 s12, 0
	s_cselect_b32 s3, -1, 0
	s_cmp_neq_f32 s14, 1.0
	s_cselect_b32 s4, -1, 0
	s_delay_alu instid0(SALU_CYCLE_1) | instskip(NEXT) | instid1(SALU_CYCLE_1)
	s_or_b32 s3, s3, s4
	s_and_not1_b32 vcc_lo, exec_lo, s3
	s_cbranch_vccnz .LBB66_27
; %bb.5:
	s_load_b64 s[4:5], s[0:1], 0x18
	s_wait_kmcnt 0x0
	s_cmp_eq_u64 s[4:5], 0
	s_cbranch_scc1 .LBB66_7
; %bb.6:
	s_mov_b32 s6, ttmp9
	s_ashr_i32 s7, ttmp9, 31
	s_delay_alu instid0(SALU_CYCLE_1) | instskip(NEXT) | instid1(SALU_CYCLE_1)
	s_lshl_b64 s[6:7], s[6:7], 2
	s_add_nc_u64 s[4:5], s[4:5], s[6:7]
	s_load_b32 s3, s[4:5], 0x0
	s_wait_kmcnt 0x0
	s_sub_co_i32 s24, s3, s2
	s_branch .LBB66_8
.LBB66_7:
	s_mov_b32 s24, ttmp9
.LBB66_8:
	s_load_b32 s16, s[0:1], 0x40
	v_lshrrev_b32_e32 v1, 3, v0
	s_mov_b32 s3, exec_lo
	s_wait_kmcnt 0x0
	s_delay_alu instid0(VALU_DEP_1)
	v_cmpx_gt_i32_e64 s16, v1
	s_cbranch_execz .LBB66_27
; %bb.9:
	s_clause 0x2
	s_load_b256 s[4:11], s[0:1], 0x20
	s_load_b64 s[18:19], s[0:1], 0x58
	s_load_b64 s[20:21], s[0:1], 0x48
	s_ashr_i32 s25, s24, 31
	v_mbcnt_lo_u32_b32 v2, -1, 0
	s_load_b32 s13, s[0:1], 0x0
	s_lshl_b64 s[0:1], s[24:25], 3
	v_dual_mov_b32 v4, 0 :: v_dual_and_b32 v3, 7, v0
	s_delay_alu instid0(VALU_DEP_2)
	v_xor_b32_e32 v5, 4, v2
	v_xor_b32_e32 v6, 2, v2
	;; [unrolled: 1-line block ×3, first 2 shown]
	s_mov_b32 s3, 0
	v_mul_lo_u32 v0, s16, v1
	v_cmp_gt_i32_e32 vcc_lo, 32, v5
	s_mov_b32 s17, s3
	v_mul_lo_u32 v11, s16, v3
	s_wait_alu 0xfffe
	s_mul_u64 s[22:23], s[16:17], s[16:17]
	v_cndmask_b32_e32 v5, v2, v5, vcc_lo
	s_wait_kmcnt 0x0
	s_add_nc_u64 s[4:5], s[4:5], s[0:1]
	s_add_nc_u64 s[26:27], s[6:7], s[0:1]
	s_cmp_eq_u64 s[6:7], 0
	s_add_nc_u64 s[6:7], s[4:5], 8
	v_cmp_gt_i32_e32 vcc_lo, 32, v6
	s_cselect_b32 s7, s7, s27
	s_cselect_b32 s6, s6, s26
	s_load_b64 s[26:27], s[4:5], 0x0
	s_load_b64 s[28:29], s[6:7], 0x0
	s_cmp_lg_u32 s13, 0
	v_cndmask_b32_e32 v6, v2, v6, vcc_lo
	v_cmp_gt_i32_e32 vcc_lo, 32, v7
	s_cselect_b32 s13, -1, 0
	s_cmp_eq_f32 s14, 0
	v_cmp_gt_u32_e64 s0, s16, v3
	v_cmp_eq_u32_e64 s1, 7, v3
	s_wait_alu 0xfffd
	v_dual_cndmask_b32 v2, v2, v7 :: v_dual_lshlrev_b32 v13, 2, v6
	s_cselect_b32 s15, -1, 0
	s_delay_alu instid0(VALU_DEP_1)
	v_lshlrev_b32_e32 v14, 2, v2
	v_lshlrev_b32_e32 v12, 2, v5
	s_wait_kmcnt 0x0
	s_sub_nc_u64 s[4:5], s[26:27], s[2:3]
	v_cmp_lt_i64_e64 s17, s[26:27], s[28:29]
	s_sub_nc_u64 s[6:7], s[28:29], s[2:3]
	s_mul_i32 s28, s24, s16
	s_mul_u64 s[24:25], s[4:5], s[22:23]
	s_lshl_b32 s29, s16, 3
	s_branch .LBB66_11
.LBB66_10:                              ;   in Loop: Header=BB66_11 Depth=1
	s_wait_alu 0xfffe
	s_or_b32 exec_lo, exec_lo, s26
	v_add_nc_u32_e32 v1, 8, v1
	v_add_nc_u32_e32 v0, s29, v0
	s_delay_alu instid0(VALU_DEP_2) | instskip(SKIP_1) | instid1(SALU_CYCLE_1)
	v_cmp_le_i32_e32 vcc_lo, s16, v1
	s_or_b32 s3, vcc_lo, s3
	s_and_not1_b32 exec_lo, exec_lo, s3
	s_cbranch_execz .LBB66_27
.LBB66_11:                              ; =>This Loop Header: Depth=1
                                        ;     Child Loop BB66_15 Depth 2
                                        ;       Child Loop BB66_18 Depth 3
	v_mov_b32_e32 v15, 0
	s_and_not1_b32 vcc_lo, exec_lo, s17
	s_wait_alu 0xfffe
	s_cbranch_vccnz .LBB66_22
; %bb.12:                               ;   in Loop: Header=BB66_11 Depth=1
	s_wait_dscnt 0x0
	v_ashrrev_i32_e32 v5, 31, v0
	v_add_co_u32 v16, vcc_lo, s24, v0
	v_ashrrev_i32_e32 v2, 31, v1
	v_mov_b32_e32 v15, 0
	s_wait_alu 0xfffd
	v_add_co_ci_u32_e64 v17, null, s25, v5, vcc_lo
	s_mov_b64 s[26:27], s[4:5]
	s_branch .LBB66_15
.LBB66_13:                              ;   in Loop: Header=BB66_15 Depth=2
	s_or_b32 exec_lo, exec_lo, s31
.LBB66_14:                              ;   in Loop: Header=BB66_15 Depth=2
	s_delay_alu instid0(SALU_CYCLE_1)
	s_or_b32 exec_lo, exec_lo, s30
	s_wait_alu 0xfffe
	s_add_nc_u64 s[26:27], s[26:27], 1
	v_add_co_u32 v16, vcc_lo, v16, s22
	s_wait_alu 0xfffe
	v_cmp_ge_i64_e64 s30, s[26:27], s[6:7]
	s_wait_alu 0xfffd
	v_add_co_ci_u32_e64 v17, null, s23, v17, vcc_lo
	s_and_b32 vcc_lo, exec_lo, s30
	s_wait_alu 0xfffe
	s_cbranch_vccnz .LBB66_22
.LBB66_15:                              ;   Parent Loop BB66_11 Depth=1
                                        ; =>  This Loop Header: Depth=2
                                        ;       Child Loop BB66_18 Depth 3
	s_and_saveexec_b32 s30, s0
	s_cbranch_execz .LBB66_14
; %bb.16:                               ;   in Loop: Header=BB66_15 Depth=2
	s_wait_alu 0xfffe
	s_lshl_b64 s[34:35], s[26:27], 2
	v_mad_co_u64_u32 v[5:6], null, s22, s26, v[1:2]
	s_wait_alu 0xfffe
	s_add_nc_u64 s[34:35], s[8:9], s[34:35]
	s_mul_i32 s33, s23, s26
	s_load_b32 s31, s[34:35], 0x0
	s_mul_i32 s34, s22, s27
	v_mov_b32_e32 v8, v4
	v_dual_mov_b32 v18, v11 :: v_dual_mov_b32 v7, v3
	s_wait_alu 0xfffe
	v_add3_u32 v6, s34, s33, v6
	s_wait_kmcnt 0x0
	s_sub_co_i32 s31, s31, s2
	s_delay_alu instid0(SALU_CYCLE_1)
	s_mul_i32 s33, s31, s16
	s_mov_b32 s31, 0
	s_branch .LBB66_18
.LBB66_17:                              ;   in Loop: Header=BB66_18 Depth=3
	v_add_nc_u32_e32 v19, s33, v7
	s_delay_alu instid0(VALU_DEP_2) | instskip(SKIP_1) | instid1(VALU_DEP_3)
	v_lshlrev_b64_e32 v[9:10], 1, v[9:10]
	v_add_nc_u32_e32 v18, s29, v18
	v_ashrrev_i32_e32 v20, 31, v19
	s_delay_alu instid0(VALU_DEP_3) | instskip(SKIP_1) | instid1(VALU_DEP_4)
	v_add_co_u32 v9, vcc_lo, s10, v9
	s_wait_alu 0xfffd
	v_add_co_ci_u32_e64 v10, null, s11, v10, vcc_lo
	s_delay_alu instid0(VALU_DEP_3) | instskip(NEXT) | instid1(VALU_DEP_1)
	v_lshlrev_b64_e32 v[19:20], 1, v[19:20]
	v_add_co_u32 v19, vcc_lo, s20, v19
	s_wait_alu 0xfffd
	s_delay_alu instid0(VALU_DEP_2)
	v_add_co_ci_u32_e64 v20, null, s21, v20, vcc_lo
	v_add_co_u32 v7, vcc_lo, v7, 8
	global_load_u16 v9, v[9:10], off
	global_load_u16 v10, v[19:20], off
	s_wait_alu 0xfffd
	v_add_co_ci_u32_e64 v8, null, 0, v8, vcc_lo
	v_cmp_le_i32_e32 vcc_lo, s16, v7
	s_or_b32 s31, vcc_lo, s31
	s_wait_loadcnt 0x1
	v_lshlrev_b32_e32 v9, 16, v9
	s_wait_loadcnt 0x0
	v_lshlrev_b32_e32 v10, 16, v10
	s_delay_alu instid0(VALU_DEP_1)
	v_fmac_f32_e32 v15, v9, v10
	s_and_not1_b32 exec_lo, exec_lo, s31
	s_cbranch_execz .LBB66_13
.LBB66_18:                              ;   Parent Loop BB66_11 Depth=1
                                        ;     Parent Loop BB66_15 Depth=2
                                        ; =>    This Inner Loop Header: Depth=3
	s_and_b32 vcc_lo, exec_lo, s13
	s_wait_alu 0xfffe
	s_cbranch_vccz .LBB66_20
; %bb.19:                               ;   in Loop: Header=BB66_18 Depth=3
	v_ashrrev_i32_e32 v10, 31, v18
	v_add_co_u32 v9, vcc_lo, v5, v18
	s_wait_alu 0xfffd
	s_delay_alu instid0(VALU_DEP_2)
	v_add_co_ci_u32_e64 v10, null, v6, v10, vcc_lo
	s_cbranch_execnz .LBB66_17
	s_branch .LBB66_21
.LBB66_20:                              ;   in Loop: Header=BB66_18 Depth=3
                                        ; implicit-def: $vgpr9_vgpr10
.LBB66_21:                              ;   in Loop: Header=BB66_18 Depth=3
	v_add_co_u32 v9, vcc_lo, v16, v7
	s_wait_alu 0xfffd
	v_add_co_ci_u32_e64 v10, null, v17, v8, vcc_lo
	s_branch .LBB66_17
.LBB66_22:                              ;   in Loop: Header=BB66_11 Depth=1
	ds_bpermute_b32 v2, v12, v15
	s_wait_dscnt 0x0
	v_add_f32_e32 v2, v15, v2
	ds_bpermute_b32 v5, v13, v2
	s_wait_dscnt 0x0
	v_add_f32_e32 v2, v2, v5
	ds_bpermute_b32 v5, v14, v2
	s_and_saveexec_b32 s26, s1
	s_cbranch_execz .LBB66_10
; %bb.23:                               ;   in Loop: Header=BB66_11 Depth=1
	s_wait_dscnt 0x0
	v_add_f32_e32 v2, v2, v5
	v_add_nc_u32_e32 v5, s28, v1
	s_and_b32 vcc_lo, exec_lo, s15
	s_delay_alu instid0(VALU_DEP_2) | instskip(NEXT) | instid1(VALU_DEP_2)
	v_mul_f32_e32 v2, s12, v2
	v_ashrrev_i32_e32 v6, 31, v5
	s_wait_alu 0xfffe
	s_cbranch_vccz .LBB66_25
; %bb.24:                               ;   in Loop: Header=BB66_11 Depth=1
	s_delay_alu instid0(VALU_DEP_1) | instskip(NEXT) | instid1(VALU_DEP_1)
	v_lshlrev_b64_e32 v[7:8], 2, v[5:6]
	v_add_co_u32 v7, vcc_lo, s18, v7
	s_wait_alu 0xfffd
	s_delay_alu instid0(VALU_DEP_2)
	v_add_co_ci_u32_e64 v8, null, s19, v8, vcc_lo
	global_store_b32 v[7:8], v2, off
	s_cbranch_execnz .LBB66_10
	s_branch .LBB66_26
.LBB66_25:                              ;   in Loop: Header=BB66_11 Depth=1
.LBB66_26:                              ;   in Loop: Header=BB66_11 Depth=1
	s_delay_alu instid0(VALU_DEP_1) | instskip(NEXT) | instid1(VALU_DEP_1)
	v_lshlrev_b64_e32 v[5:6], 2, v[5:6]
	v_add_co_u32 v5, vcc_lo, s18, v5
	s_wait_alu 0xfffd
	s_delay_alu instid0(VALU_DEP_2)
	v_add_co_ci_u32_e64 v6, null, s19, v6, vcc_lo
	global_load_b32 v7, v[5:6], off
	s_wait_loadcnt 0x0
	v_fmac_f32_e32 v2, s14, v7
	global_store_b32 v[5:6], v2, off
	s_branch .LBB66_10
.LBB66_27:
	s_endpgm
	.section	.rodata,"a",@progbits
	.p2align	6, 0x0
	.amdhsa_kernel _ZN9rocsparseL22bsrxmvn_general_kernelILj64ELj8Efli18rocsparse_bfloat16S1_fEEv20rocsparse_direction_NS_24const_host_device_scalarIT1_EET3_PKS6_PKT2_SB_S8_PKT4_S6_PKT5_S5_PT6_21rocsparse_index_base_b
		.amdhsa_group_segment_fixed_size 0
		.amdhsa_private_segment_fixed_size 0
		.amdhsa_kernarg_size 104
		.amdhsa_user_sgpr_count 2
		.amdhsa_user_sgpr_dispatch_ptr 0
		.amdhsa_user_sgpr_queue_ptr 0
		.amdhsa_user_sgpr_kernarg_segment_ptr 1
		.amdhsa_user_sgpr_dispatch_id 0
		.amdhsa_user_sgpr_private_segment_size 0
		.amdhsa_wavefront_size32 1
		.amdhsa_uses_dynamic_stack 0
		.amdhsa_enable_private_segment 0
		.amdhsa_system_sgpr_workgroup_id_x 1
		.amdhsa_system_sgpr_workgroup_id_y 0
		.amdhsa_system_sgpr_workgroup_id_z 0
		.amdhsa_system_sgpr_workgroup_info 0
		.amdhsa_system_vgpr_workitem_id 0
		.amdhsa_next_free_vgpr 21
		.amdhsa_next_free_sgpr 36
		.amdhsa_reserve_vcc 1
		.amdhsa_float_round_mode_32 0
		.amdhsa_float_round_mode_16_64 0
		.amdhsa_float_denorm_mode_32 3
		.amdhsa_float_denorm_mode_16_64 3
		.amdhsa_fp16_overflow 0
		.amdhsa_workgroup_processor_mode 1
		.amdhsa_memory_ordered 1
		.amdhsa_forward_progress 1
		.amdhsa_inst_pref_size 10
		.amdhsa_round_robin_scheduling 0
		.amdhsa_exception_fp_ieee_invalid_op 0
		.amdhsa_exception_fp_denorm_src 0
		.amdhsa_exception_fp_ieee_div_zero 0
		.amdhsa_exception_fp_ieee_overflow 0
		.amdhsa_exception_fp_ieee_underflow 0
		.amdhsa_exception_fp_ieee_inexact 0
		.amdhsa_exception_int_div_zero 0
	.end_amdhsa_kernel
	.section	.text._ZN9rocsparseL22bsrxmvn_general_kernelILj64ELj8Efli18rocsparse_bfloat16S1_fEEv20rocsparse_direction_NS_24const_host_device_scalarIT1_EET3_PKS6_PKT2_SB_S8_PKT4_S6_PKT5_S5_PT6_21rocsparse_index_base_b,"axG",@progbits,_ZN9rocsparseL22bsrxmvn_general_kernelILj64ELj8Efli18rocsparse_bfloat16S1_fEEv20rocsparse_direction_NS_24const_host_device_scalarIT1_EET3_PKS6_PKT2_SB_S8_PKT4_S6_PKT5_S5_PT6_21rocsparse_index_base_b,comdat
.Lfunc_end66:
	.size	_ZN9rocsparseL22bsrxmvn_general_kernelILj64ELj8Efli18rocsparse_bfloat16S1_fEEv20rocsparse_direction_NS_24const_host_device_scalarIT1_EET3_PKS6_PKT2_SB_S8_PKT4_S6_PKT5_S5_PT6_21rocsparse_index_base_b, .Lfunc_end66-_ZN9rocsparseL22bsrxmvn_general_kernelILj64ELj8Efli18rocsparse_bfloat16S1_fEEv20rocsparse_direction_NS_24const_host_device_scalarIT1_EET3_PKS6_PKT2_SB_S8_PKT4_S6_PKT5_S5_PT6_21rocsparse_index_base_b
                                        ; -- End function
	.set _ZN9rocsparseL22bsrxmvn_general_kernelILj64ELj8Efli18rocsparse_bfloat16S1_fEEv20rocsparse_direction_NS_24const_host_device_scalarIT1_EET3_PKS6_PKT2_SB_S8_PKT4_S6_PKT5_S5_PT6_21rocsparse_index_base_b.num_vgpr, 21
	.set _ZN9rocsparseL22bsrxmvn_general_kernelILj64ELj8Efli18rocsparse_bfloat16S1_fEEv20rocsparse_direction_NS_24const_host_device_scalarIT1_EET3_PKS6_PKT2_SB_S8_PKT4_S6_PKT5_S5_PT6_21rocsparse_index_base_b.num_agpr, 0
	.set _ZN9rocsparseL22bsrxmvn_general_kernelILj64ELj8Efli18rocsparse_bfloat16S1_fEEv20rocsparse_direction_NS_24const_host_device_scalarIT1_EET3_PKS6_PKT2_SB_S8_PKT4_S6_PKT5_S5_PT6_21rocsparse_index_base_b.numbered_sgpr, 36
	.set _ZN9rocsparseL22bsrxmvn_general_kernelILj64ELj8Efli18rocsparse_bfloat16S1_fEEv20rocsparse_direction_NS_24const_host_device_scalarIT1_EET3_PKS6_PKT2_SB_S8_PKT4_S6_PKT5_S5_PT6_21rocsparse_index_base_b.num_named_barrier, 0
	.set _ZN9rocsparseL22bsrxmvn_general_kernelILj64ELj8Efli18rocsparse_bfloat16S1_fEEv20rocsparse_direction_NS_24const_host_device_scalarIT1_EET3_PKS6_PKT2_SB_S8_PKT4_S6_PKT5_S5_PT6_21rocsparse_index_base_b.private_seg_size, 0
	.set _ZN9rocsparseL22bsrxmvn_general_kernelILj64ELj8Efli18rocsparse_bfloat16S1_fEEv20rocsparse_direction_NS_24const_host_device_scalarIT1_EET3_PKS6_PKT2_SB_S8_PKT4_S6_PKT5_S5_PT6_21rocsparse_index_base_b.uses_vcc, 1
	.set _ZN9rocsparseL22bsrxmvn_general_kernelILj64ELj8Efli18rocsparse_bfloat16S1_fEEv20rocsparse_direction_NS_24const_host_device_scalarIT1_EET3_PKS6_PKT2_SB_S8_PKT4_S6_PKT5_S5_PT6_21rocsparse_index_base_b.uses_flat_scratch, 0
	.set _ZN9rocsparseL22bsrxmvn_general_kernelILj64ELj8Efli18rocsparse_bfloat16S1_fEEv20rocsparse_direction_NS_24const_host_device_scalarIT1_EET3_PKS6_PKT2_SB_S8_PKT4_S6_PKT5_S5_PT6_21rocsparse_index_base_b.has_dyn_sized_stack, 0
	.set _ZN9rocsparseL22bsrxmvn_general_kernelILj64ELj8Efli18rocsparse_bfloat16S1_fEEv20rocsparse_direction_NS_24const_host_device_scalarIT1_EET3_PKS6_PKT2_SB_S8_PKT4_S6_PKT5_S5_PT6_21rocsparse_index_base_b.has_recursion, 0
	.set _ZN9rocsparseL22bsrxmvn_general_kernelILj64ELj8Efli18rocsparse_bfloat16S1_fEEv20rocsparse_direction_NS_24const_host_device_scalarIT1_EET3_PKS6_PKT2_SB_S8_PKT4_S6_PKT5_S5_PT6_21rocsparse_index_base_b.has_indirect_call, 0
	.section	.AMDGPU.csdata,"",@progbits
; Kernel info:
; codeLenInByte = 1176
; TotalNumSgprs: 38
; NumVgprs: 21
; ScratchSize: 0
; MemoryBound: 0
; FloatMode: 240
; IeeeMode: 1
; LDSByteSize: 0 bytes/workgroup (compile time only)
; SGPRBlocks: 0
; VGPRBlocks: 2
; NumSGPRsForWavesPerEU: 38
; NumVGPRsForWavesPerEU: 21
; Occupancy: 16
; WaveLimiterHint : 1
; COMPUTE_PGM_RSRC2:SCRATCH_EN: 0
; COMPUTE_PGM_RSRC2:USER_SGPR: 2
; COMPUTE_PGM_RSRC2:TRAP_HANDLER: 0
; COMPUTE_PGM_RSRC2:TGID_X_EN: 1
; COMPUTE_PGM_RSRC2:TGID_Y_EN: 0
; COMPUTE_PGM_RSRC2:TGID_Z_EN: 0
; COMPUTE_PGM_RSRC2:TIDIG_COMP_CNT: 0
	.section	.text._ZN9rocsparseL22bsrxmvn_general_kernelILj256ELj16Efli18rocsparse_bfloat16S1_fEEv20rocsparse_direction_NS_24const_host_device_scalarIT1_EET3_PKS6_PKT2_SB_S8_PKT4_S6_PKT5_S5_PT6_21rocsparse_index_base_b,"axG",@progbits,_ZN9rocsparseL22bsrxmvn_general_kernelILj256ELj16Efli18rocsparse_bfloat16S1_fEEv20rocsparse_direction_NS_24const_host_device_scalarIT1_EET3_PKS6_PKT2_SB_S8_PKT4_S6_PKT5_S5_PT6_21rocsparse_index_base_b,comdat
	.globl	_ZN9rocsparseL22bsrxmvn_general_kernelILj256ELj16Efli18rocsparse_bfloat16S1_fEEv20rocsparse_direction_NS_24const_host_device_scalarIT1_EET3_PKS6_PKT2_SB_S8_PKT4_S6_PKT5_S5_PT6_21rocsparse_index_base_b ; -- Begin function _ZN9rocsparseL22bsrxmvn_general_kernelILj256ELj16Efli18rocsparse_bfloat16S1_fEEv20rocsparse_direction_NS_24const_host_device_scalarIT1_EET3_PKS6_PKT2_SB_S8_PKT4_S6_PKT5_S5_PT6_21rocsparse_index_base_b
	.p2align	8
	.type	_ZN9rocsparseL22bsrxmvn_general_kernelILj256ELj16Efli18rocsparse_bfloat16S1_fEEv20rocsparse_direction_NS_24const_host_device_scalarIT1_EET3_PKS6_PKT2_SB_S8_PKT4_S6_PKT5_S5_PT6_21rocsparse_index_base_b,@function
_ZN9rocsparseL22bsrxmvn_general_kernelILj256ELj16Efli18rocsparse_bfloat16S1_fEEv20rocsparse_direction_NS_24const_host_device_scalarIT1_EET3_PKS6_PKT2_SB_S8_PKT4_S6_PKT5_S5_PT6_21rocsparse_index_base_b: ; @_ZN9rocsparseL22bsrxmvn_general_kernelILj256ELj16Efli18rocsparse_bfloat16S1_fEEv20rocsparse_direction_NS_24const_host_device_scalarIT1_EET3_PKS6_PKT2_SB_S8_PKT4_S6_PKT5_S5_PT6_21rocsparse_index_base_b
; %bb.0:
	s_clause 0x2
	s_load_b64 s[2:3], s[0:1], 0x60
	s_load_b64 s[12:13], s[0:1], 0x8
	s_load_b64 s[14:15], s[0:1], 0x50
	s_wait_kmcnt 0x0
	s_bitcmp1_b32 s3, 0
	s_cselect_b32 s3, -1, 0
	s_delay_alu instid0(SALU_CYCLE_1)
	s_and_b32 vcc_lo, exec_lo, s3
	s_xor_b32 s3, s3, -1
	s_cbranch_vccnz .LBB67_2
; %bb.1:
	s_load_b32 s12, s[12:13], 0x0
.LBB67_2:
	s_and_not1_b32 vcc_lo, exec_lo, s3
	s_cbranch_vccnz .LBB67_4
; %bb.3:
	s_load_b32 s14, s[14:15], 0x0
.LBB67_4:
	s_wait_kmcnt 0x0
	s_cmp_neq_f32 s12, 0
	s_cselect_b32 s3, -1, 0
	s_cmp_neq_f32 s14, 1.0
	s_cselect_b32 s4, -1, 0
	s_delay_alu instid0(SALU_CYCLE_1) | instskip(NEXT) | instid1(SALU_CYCLE_1)
	s_or_b32 s3, s3, s4
	s_and_not1_b32 vcc_lo, exec_lo, s3
	s_cbranch_vccnz .LBB67_27
; %bb.5:
	s_load_b64 s[4:5], s[0:1], 0x18
	s_wait_kmcnt 0x0
	s_cmp_eq_u64 s[4:5], 0
	s_cbranch_scc1 .LBB67_7
; %bb.6:
	s_mov_b32 s6, ttmp9
	s_ashr_i32 s7, ttmp9, 31
	s_delay_alu instid0(SALU_CYCLE_1) | instskip(NEXT) | instid1(SALU_CYCLE_1)
	s_lshl_b64 s[6:7], s[6:7], 2
	s_add_nc_u64 s[4:5], s[4:5], s[6:7]
	s_load_b32 s3, s[4:5], 0x0
	s_wait_kmcnt 0x0
	s_sub_co_i32 s24, s3, s2
	s_branch .LBB67_8
.LBB67_7:
	s_mov_b32 s24, ttmp9
.LBB67_8:
	s_load_b32 s16, s[0:1], 0x40
	v_lshrrev_b32_e32 v1, 4, v0
	s_mov_b32 s3, exec_lo
	s_wait_kmcnt 0x0
	s_delay_alu instid0(VALU_DEP_1)
	v_cmpx_gt_i32_e64 s16, v1
	s_cbranch_execz .LBB67_27
; %bb.9:
	s_clause 0x2
	s_load_b256 s[4:11], s[0:1], 0x20
	s_load_b64 s[18:19], s[0:1], 0x58
	s_load_b64 s[20:21], s[0:1], 0x48
	v_mbcnt_lo_u32_b32 v2, -1, 0
	s_ashr_i32 s25, s24, 31
	s_load_b32 s13, s[0:1], 0x0
	s_lshl_b64 s[26:27], s[24:25], 3
	v_dual_mov_b32 v4, 0 :: v_dual_and_b32 v3, 15, v0
	v_xor_b32_e32 v5, 8, v2
	v_xor_b32_e32 v6, 4, v2
	;; [unrolled: 1-line block ×4, first 2 shown]
	s_mov_b32 s3, 0
	v_cmp_gt_i32_e32 vcc_lo, 32, v5
	v_mul_lo_u32 v0, s16, v1
	s_mov_b32 s17, s3
	v_mul_lo_u32 v11, s16, v3
	s_wait_alu 0xfffe
	s_mul_u64 s[22:23], s[16:17], s[16:17]
	v_cndmask_b32_e32 v5, v2, v5, vcc_lo
	s_wait_kmcnt 0x0
	s_add_nc_u64 s[4:5], s[4:5], s[26:27]
	s_add_nc_u64 s[26:27], s[6:7], s[26:27]
	s_cmp_eq_u64 s[6:7], 0
	s_add_nc_u64 s[6:7], s[4:5], 8
	v_cmp_gt_i32_e32 vcc_lo, 32, v6
	s_cselect_b32 s7, s7, s27
	s_cselect_b32 s6, s6, s26
	s_load_b64 s[26:27], s[4:5], 0x0
	s_load_b64 s[28:29], s[6:7], 0x0
	s_cmp_lg_u32 s13, 0
	v_cndmask_b32_e32 v6, v2, v6, vcc_lo
	v_cmp_gt_i32_e32 vcc_lo, 32, v7
	s_cselect_b32 s13, -1, 0
	s_cmp_eq_f32 s14, 0
	v_cmp_gt_u32_e64 s0, s16, v3
	v_cmp_eq_u32_e64 s1, 15, v3
	s_wait_alu 0xfffd
	v_cndmask_b32_e32 v7, v2, v7, vcc_lo
	v_cmp_gt_i32_e32 vcc_lo, 32, v8
	v_lshlrev_b32_e32 v13, 2, v6
	s_cselect_b32 s15, -1, 0
	s_delay_alu instid0(VALU_DEP_3) | instskip(SKIP_3) | instid1(VALU_DEP_2)
	v_lshlrev_b32_e32 v14, 2, v7
	s_wait_alu 0xfffd
	v_cndmask_b32_e32 v2, v2, v8, vcc_lo
	v_lshlrev_b32_e32 v12, 2, v5
	v_lshlrev_b32_e32 v15, 2, v2
	s_wait_kmcnt 0x0
	v_cmp_lt_i64_e64 s17, s[26:27], s[28:29]
	s_sub_nc_u64 s[4:5], s[26:27], s[2:3]
	s_sub_nc_u64 s[6:7], s[28:29], s[2:3]
	s_mul_i32 s28, s24, s16
	s_mul_u64 s[24:25], s[4:5], s[22:23]
	s_lshl_b32 s29, s16, 4
	s_branch .LBB67_11
.LBB67_10:                              ;   in Loop: Header=BB67_11 Depth=1
	s_wait_alu 0xfffe
	s_or_b32 exec_lo, exec_lo, s26
	v_add_nc_u32_e32 v1, 16, v1
	v_add_nc_u32_e32 v0, s29, v0
	s_delay_alu instid0(VALU_DEP_2) | instskip(SKIP_1) | instid1(SALU_CYCLE_1)
	v_cmp_le_i32_e32 vcc_lo, s16, v1
	s_or_b32 s3, vcc_lo, s3
	s_and_not1_b32 exec_lo, exec_lo, s3
	s_cbranch_execz .LBB67_27
.LBB67_11:                              ; =>This Loop Header: Depth=1
                                        ;     Child Loop BB67_15 Depth 2
                                        ;       Child Loop BB67_18 Depth 3
	v_mov_b32_e32 v16, 0
	s_and_not1_b32 vcc_lo, exec_lo, s17
	s_wait_alu 0xfffe
	s_cbranch_vccnz .LBB67_22
; %bb.12:                               ;   in Loop: Header=BB67_11 Depth=1
	s_wait_dscnt 0x0
	v_ashrrev_i32_e32 v5, 31, v0
	v_add_co_u32 v17, vcc_lo, s24, v0
	v_ashrrev_i32_e32 v2, 31, v1
	v_mov_b32_e32 v16, 0
	s_wait_alu 0xfffd
	v_add_co_ci_u32_e64 v18, null, s25, v5, vcc_lo
	s_mov_b64 s[26:27], s[4:5]
	s_branch .LBB67_15
.LBB67_13:                              ;   in Loop: Header=BB67_15 Depth=2
	s_or_b32 exec_lo, exec_lo, s31
.LBB67_14:                              ;   in Loop: Header=BB67_15 Depth=2
	s_delay_alu instid0(SALU_CYCLE_1)
	s_or_b32 exec_lo, exec_lo, s30
	s_wait_alu 0xfffe
	s_add_nc_u64 s[26:27], s[26:27], 1
	v_add_co_u32 v17, vcc_lo, v17, s22
	s_wait_alu 0xfffe
	v_cmp_ge_i64_e64 s30, s[26:27], s[6:7]
	s_wait_alu 0xfffd
	v_add_co_ci_u32_e64 v18, null, s23, v18, vcc_lo
	s_and_b32 vcc_lo, exec_lo, s30
	s_wait_alu 0xfffe
	s_cbranch_vccnz .LBB67_22
.LBB67_15:                              ;   Parent Loop BB67_11 Depth=1
                                        ; =>  This Loop Header: Depth=2
                                        ;       Child Loop BB67_18 Depth 3
	s_and_saveexec_b32 s30, s0
	s_cbranch_execz .LBB67_14
; %bb.16:                               ;   in Loop: Header=BB67_15 Depth=2
	s_wait_alu 0xfffe
	s_lshl_b64 s[34:35], s[26:27], 2
	v_mad_co_u64_u32 v[5:6], null, s22, s26, v[1:2]
	s_wait_alu 0xfffe
	s_add_nc_u64 s[34:35], s[8:9], s[34:35]
	s_mul_i32 s33, s23, s26
	s_load_b32 s31, s[34:35], 0x0
	s_mul_i32 s34, s22, s27
	v_dual_mov_b32 v19, v11 :: v_dual_mov_b32 v8, v4
	v_mov_b32_e32 v7, v3
	s_wait_alu 0xfffe
	v_add3_u32 v6, s34, s33, v6
	s_wait_kmcnt 0x0
	s_sub_co_i32 s31, s31, s2
	s_delay_alu instid0(SALU_CYCLE_1)
	s_mul_i32 s33, s31, s16
	s_mov_b32 s31, 0
	s_branch .LBB67_18
.LBB67_17:                              ;   in Loop: Header=BB67_18 Depth=3
	v_add_nc_u32_e32 v20, s33, v7
	s_delay_alu instid0(VALU_DEP_2) | instskip(SKIP_1) | instid1(VALU_DEP_3)
	v_lshlrev_b64_e32 v[9:10], 1, v[9:10]
	v_add_nc_u32_e32 v19, s29, v19
	v_ashrrev_i32_e32 v21, 31, v20
	s_delay_alu instid0(VALU_DEP_3) | instskip(SKIP_1) | instid1(VALU_DEP_4)
	v_add_co_u32 v9, vcc_lo, s10, v9
	s_wait_alu 0xfffd
	v_add_co_ci_u32_e64 v10, null, s11, v10, vcc_lo
	s_delay_alu instid0(VALU_DEP_3) | instskip(NEXT) | instid1(VALU_DEP_1)
	v_lshlrev_b64_e32 v[20:21], 1, v[20:21]
	v_add_co_u32 v20, vcc_lo, s20, v20
	s_wait_alu 0xfffd
	s_delay_alu instid0(VALU_DEP_2)
	v_add_co_ci_u32_e64 v21, null, s21, v21, vcc_lo
	global_load_u16 v9, v[9:10], off
	global_load_u16 v10, v[20:21], off
	v_add_co_u32 v7, vcc_lo, v7, 16
	s_wait_alu 0xfffd
	v_add_co_ci_u32_e64 v8, null, 0, v8, vcc_lo
	s_delay_alu instid0(VALU_DEP_2)
	v_cmp_le_i32_e32 vcc_lo, s16, v7
	s_or_b32 s31, vcc_lo, s31
	s_wait_loadcnt 0x1
	v_lshlrev_b32_e32 v9, 16, v9
	s_wait_loadcnt 0x0
	v_lshlrev_b32_e32 v10, 16, v10
	s_delay_alu instid0(VALU_DEP_1)
	v_fmac_f32_e32 v16, v9, v10
	s_and_not1_b32 exec_lo, exec_lo, s31
	s_cbranch_execz .LBB67_13
.LBB67_18:                              ;   Parent Loop BB67_11 Depth=1
                                        ;     Parent Loop BB67_15 Depth=2
                                        ; =>    This Inner Loop Header: Depth=3
	s_and_b32 vcc_lo, exec_lo, s13
	s_wait_alu 0xfffe
	s_cbranch_vccz .LBB67_20
; %bb.19:                               ;   in Loop: Header=BB67_18 Depth=3
	v_ashrrev_i32_e32 v10, 31, v19
	v_add_co_u32 v9, vcc_lo, v5, v19
	s_wait_alu 0xfffd
	s_delay_alu instid0(VALU_DEP_2)
	v_add_co_ci_u32_e64 v10, null, v6, v10, vcc_lo
	s_cbranch_execnz .LBB67_17
	s_branch .LBB67_21
.LBB67_20:                              ;   in Loop: Header=BB67_18 Depth=3
                                        ; implicit-def: $vgpr9_vgpr10
.LBB67_21:                              ;   in Loop: Header=BB67_18 Depth=3
	v_add_co_u32 v9, vcc_lo, v17, v7
	s_wait_alu 0xfffd
	v_add_co_ci_u32_e64 v10, null, v18, v8, vcc_lo
	s_branch .LBB67_17
.LBB67_22:                              ;   in Loop: Header=BB67_11 Depth=1
	ds_bpermute_b32 v2, v12, v16
	s_wait_dscnt 0x0
	v_add_f32_e32 v2, v16, v2
	ds_bpermute_b32 v5, v13, v2
	s_wait_dscnt 0x0
	v_add_f32_e32 v2, v2, v5
	;; [unrolled: 3-line block ×3, first 2 shown]
	ds_bpermute_b32 v5, v15, v2
	s_and_saveexec_b32 s26, s1
	s_cbranch_execz .LBB67_10
; %bb.23:                               ;   in Loop: Header=BB67_11 Depth=1
	s_wait_dscnt 0x0
	v_add_f32_e32 v2, v2, v5
	v_add_nc_u32_e32 v5, s28, v1
	s_and_b32 vcc_lo, exec_lo, s15
	s_delay_alu instid0(VALU_DEP_2) | instskip(NEXT) | instid1(VALU_DEP_2)
	v_mul_f32_e32 v2, s12, v2
	v_ashrrev_i32_e32 v6, 31, v5
	s_wait_alu 0xfffe
	s_cbranch_vccz .LBB67_25
; %bb.24:                               ;   in Loop: Header=BB67_11 Depth=1
	s_delay_alu instid0(VALU_DEP_1) | instskip(NEXT) | instid1(VALU_DEP_1)
	v_lshlrev_b64_e32 v[7:8], 2, v[5:6]
	v_add_co_u32 v7, vcc_lo, s18, v7
	s_wait_alu 0xfffd
	s_delay_alu instid0(VALU_DEP_2)
	v_add_co_ci_u32_e64 v8, null, s19, v8, vcc_lo
	global_store_b32 v[7:8], v2, off
	s_cbranch_execnz .LBB67_10
	s_branch .LBB67_26
.LBB67_25:                              ;   in Loop: Header=BB67_11 Depth=1
.LBB67_26:                              ;   in Loop: Header=BB67_11 Depth=1
	s_delay_alu instid0(VALU_DEP_1) | instskip(NEXT) | instid1(VALU_DEP_1)
	v_lshlrev_b64_e32 v[5:6], 2, v[5:6]
	v_add_co_u32 v5, vcc_lo, s18, v5
	s_wait_alu 0xfffd
	s_delay_alu instid0(VALU_DEP_2)
	v_add_co_ci_u32_e64 v6, null, s19, v6, vcc_lo
	global_load_b32 v7, v[5:6], off
	s_wait_loadcnt 0x0
	v_fmac_f32_e32 v2, s14, v7
	global_store_b32 v[5:6], v2, off
	s_branch .LBB67_10
.LBB67_27:
	s_endpgm
	.section	.rodata,"a",@progbits
	.p2align	6, 0x0
	.amdhsa_kernel _ZN9rocsparseL22bsrxmvn_general_kernelILj256ELj16Efli18rocsparse_bfloat16S1_fEEv20rocsparse_direction_NS_24const_host_device_scalarIT1_EET3_PKS6_PKT2_SB_S8_PKT4_S6_PKT5_S5_PT6_21rocsparse_index_base_b
		.amdhsa_group_segment_fixed_size 0
		.amdhsa_private_segment_fixed_size 0
		.amdhsa_kernarg_size 104
		.amdhsa_user_sgpr_count 2
		.amdhsa_user_sgpr_dispatch_ptr 0
		.amdhsa_user_sgpr_queue_ptr 0
		.amdhsa_user_sgpr_kernarg_segment_ptr 1
		.amdhsa_user_sgpr_dispatch_id 0
		.amdhsa_user_sgpr_private_segment_size 0
		.amdhsa_wavefront_size32 1
		.amdhsa_uses_dynamic_stack 0
		.amdhsa_enable_private_segment 0
		.amdhsa_system_sgpr_workgroup_id_x 1
		.amdhsa_system_sgpr_workgroup_id_y 0
		.amdhsa_system_sgpr_workgroup_id_z 0
		.amdhsa_system_sgpr_workgroup_info 0
		.amdhsa_system_vgpr_workitem_id 0
		.amdhsa_next_free_vgpr 22
		.amdhsa_next_free_sgpr 36
		.amdhsa_reserve_vcc 1
		.amdhsa_float_round_mode_32 0
		.amdhsa_float_round_mode_16_64 0
		.amdhsa_float_denorm_mode_32 3
		.amdhsa_float_denorm_mode_16_64 3
		.amdhsa_fp16_overflow 0
		.amdhsa_workgroup_processor_mode 1
		.amdhsa_memory_ordered 1
		.amdhsa_forward_progress 1
		.amdhsa_inst_pref_size 10
		.amdhsa_round_robin_scheduling 0
		.amdhsa_exception_fp_ieee_invalid_op 0
		.amdhsa_exception_fp_denorm_src 0
		.amdhsa_exception_fp_ieee_div_zero 0
		.amdhsa_exception_fp_ieee_overflow 0
		.amdhsa_exception_fp_ieee_underflow 0
		.amdhsa_exception_fp_ieee_inexact 0
		.amdhsa_exception_int_div_zero 0
	.end_amdhsa_kernel
	.section	.text._ZN9rocsparseL22bsrxmvn_general_kernelILj256ELj16Efli18rocsparse_bfloat16S1_fEEv20rocsparse_direction_NS_24const_host_device_scalarIT1_EET3_PKS6_PKT2_SB_S8_PKT4_S6_PKT5_S5_PT6_21rocsparse_index_base_b,"axG",@progbits,_ZN9rocsparseL22bsrxmvn_general_kernelILj256ELj16Efli18rocsparse_bfloat16S1_fEEv20rocsparse_direction_NS_24const_host_device_scalarIT1_EET3_PKS6_PKT2_SB_S8_PKT4_S6_PKT5_S5_PT6_21rocsparse_index_base_b,comdat
.Lfunc_end67:
	.size	_ZN9rocsparseL22bsrxmvn_general_kernelILj256ELj16Efli18rocsparse_bfloat16S1_fEEv20rocsparse_direction_NS_24const_host_device_scalarIT1_EET3_PKS6_PKT2_SB_S8_PKT4_S6_PKT5_S5_PT6_21rocsparse_index_base_b, .Lfunc_end67-_ZN9rocsparseL22bsrxmvn_general_kernelILj256ELj16Efli18rocsparse_bfloat16S1_fEEv20rocsparse_direction_NS_24const_host_device_scalarIT1_EET3_PKS6_PKT2_SB_S8_PKT4_S6_PKT5_S5_PT6_21rocsparse_index_base_b
                                        ; -- End function
	.set _ZN9rocsparseL22bsrxmvn_general_kernelILj256ELj16Efli18rocsparse_bfloat16S1_fEEv20rocsparse_direction_NS_24const_host_device_scalarIT1_EET3_PKS6_PKT2_SB_S8_PKT4_S6_PKT5_S5_PT6_21rocsparse_index_base_b.num_vgpr, 22
	.set _ZN9rocsparseL22bsrxmvn_general_kernelILj256ELj16Efli18rocsparse_bfloat16S1_fEEv20rocsparse_direction_NS_24const_host_device_scalarIT1_EET3_PKS6_PKT2_SB_S8_PKT4_S6_PKT5_S5_PT6_21rocsparse_index_base_b.num_agpr, 0
	.set _ZN9rocsparseL22bsrxmvn_general_kernelILj256ELj16Efli18rocsparse_bfloat16S1_fEEv20rocsparse_direction_NS_24const_host_device_scalarIT1_EET3_PKS6_PKT2_SB_S8_PKT4_S6_PKT5_S5_PT6_21rocsparse_index_base_b.numbered_sgpr, 36
	.set _ZN9rocsparseL22bsrxmvn_general_kernelILj256ELj16Efli18rocsparse_bfloat16S1_fEEv20rocsparse_direction_NS_24const_host_device_scalarIT1_EET3_PKS6_PKT2_SB_S8_PKT4_S6_PKT5_S5_PT6_21rocsparse_index_base_b.num_named_barrier, 0
	.set _ZN9rocsparseL22bsrxmvn_general_kernelILj256ELj16Efli18rocsparse_bfloat16S1_fEEv20rocsparse_direction_NS_24const_host_device_scalarIT1_EET3_PKS6_PKT2_SB_S8_PKT4_S6_PKT5_S5_PT6_21rocsparse_index_base_b.private_seg_size, 0
	.set _ZN9rocsparseL22bsrxmvn_general_kernelILj256ELj16Efli18rocsparse_bfloat16S1_fEEv20rocsparse_direction_NS_24const_host_device_scalarIT1_EET3_PKS6_PKT2_SB_S8_PKT4_S6_PKT5_S5_PT6_21rocsparse_index_base_b.uses_vcc, 1
	.set _ZN9rocsparseL22bsrxmvn_general_kernelILj256ELj16Efli18rocsparse_bfloat16S1_fEEv20rocsparse_direction_NS_24const_host_device_scalarIT1_EET3_PKS6_PKT2_SB_S8_PKT4_S6_PKT5_S5_PT6_21rocsparse_index_base_b.uses_flat_scratch, 0
	.set _ZN9rocsparseL22bsrxmvn_general_kernelILj256ELj16Efli18rocsparse_bfloat16S1_fEEv20rocsparse_direction_NS_24const_host_device_scalarIT1_EET3_PKS6_PKT2_SB_S8_PKT4_S6_PKT5_S5_PT6_21rocsparse_index_base_b.has_dyn_sized_stack, 0
	.set _ZN9rocsparseL22bsrxmvn_general_kernelILj256ELj16Efli18rocsparse_bfloat16S1_fEEv20rocsparse_direction_NS_24const_host_device_scalarIT1_EET3_PKS6_PKT2_SB_S8_PKT4_S6_PKT5_S5_PT6_21rocsparse_index_base_b.has_recursion, 0
	.set _ZN9rocsparseL22bsrxmvn_general_kernelILj256ELj16Efli18rocsparse_bfloat16S1_fEEv20rocsparse_direction_NS_24const_host_device_scalarIT1_EET3_PKS6_PKT2_SB_S8_PKT4_S6_PKT5_S5_PT6_21rocsparse_index_base_b.has_indirect_call, 0
	.section	.AMDGPU.csdata,"",@progbits
; Kernel info:
; codeLenInByte = 1212
; TotalNumSgprs: 38
; NumVgprs: 22
; ScratchSize: 0
; MemoryBound: 0
; FloatMode: 240
; IeeeMode: 1
; LDSByteSize: 0 bytes/workgroup (compile time only)
; SGPRBlocks: 0
; VGPRBlocks: 2
; NumSGPRsForWavesPerEU: 38
; NumVGPRsForWavesPerEU: 22
; Occupancy: 16
; WaveLimiterHint : 1
; COMPUTE_PGM_RSRC2:SCRATCH_EN: 0
; COMPUTE_PGM_RSRC2:USER_SGPR: 2
; COMPUTE_PGM_RSRC2:TRAP_HANDLER: 0
; COMPUTE_PGM_RSRC2:TGID_X_EN: 1
; COMPUTE_PGM_RSRC2:TGID_Y_EN: 0
; COMPUTE_PGM_RSRC2:TGID_Z_EN: 0
; COMPUTE_PGM_RSRC2:TIDIG_COMP_CNT: 0
	.section	.text._ZN9rocsparseL22bsrxmvn_general_kernelILj1024ELj32Efli18rocsparse_bfloat16S1_fEEv20rocsparse_direction_NS_24const_host_device_scalarIT1_EET3_PKS6_PKT2_SB_S8_PKT4_S6_PKT5_S5_PT6_21rocsparse_index_base_b,"axG",@progbits,_ZN9rocsparseL22bsrxmvn_general_kernelILj1024ELj32Efli18rocsparse_bfloat16S1_fEEv20rocsparse_direction_NS_24const_host_device_scalarIT1_EET3_PKS6_PKT2_SB_S8_PKT4_S6_PKT5_S5_PT6_21rocsparse_index_base_b,comdat
	.globl	_ZN9rocsparseL22bsrxmvn_general_kernelILj1024ELj32Efli18rocsparse_bfloat16S1_fEEv20rocsparse_direction_NS_24const_host_device_scalarIT1_EET3_PKS6_PKT2_SB_S8_PKT4_S6_PKT5_S5_PT6_21rocsparse_index_base_b ; -- Begin function _ZN9rocsparseL22bsrxmvn_general_kernelILj1024ELj32Efli18rocsparse_bfloat16S1_fEEv20rocsparse_direction_NS_24const_host_device_scalarIT1_EET3_PKS6_PKT2_SB_S8_PKT4_S6_PKT5_S5_PT6_21rocsparse_index_base_b
	.p2align	8
	.type	_ZN9rocsparseL22bsrxmvn_general_kernelILj1024ELj32Efli18rocsparse_bfloat16S1_fEEv20rocsparse_direction_NS_24const_host_device_scalarIT1_EET3_PKS6_PKT2_SB_S8_PKT4_S6_PKT5_S5_PT6_21rocsparse_index_base_b,@function
_ZN9rocsparseL22bsrxmvn_general_kernelILj1024ELj32Efli18rocsparse_bfloat16S1_fEEv20rocsparse_direction_NS_24const_host_device_scalarIT1_EET3_PKS6_PKT2_SB_S8_PKT4_S6_PKT5_S5_PT6_21rocsparse_index_base_b: ; @_ZN9rocsparseL22bsrxmvn_general_kernelILj1024ELj32Efli18rocsparse_bfloat16S1_fEEv20rocsparse_direction_NS_24const_host_device_scalarIT1_EET3_PKS6_PKT2_SB_S8_PKT4_S6_PKT5_S5_PT6_21rocsparse_index_base_b
; %bb.0:
	s_clause 0x2
	s_load_b64 s[2:3], s[0:1], 0x60
	s_load_b64 s[12:13], s[0:1], 0x8
	;; [unrolled: 1-line block ×3, first 2 shown]
	s_wait_kmcnt 0x0
	s_bitcmp1_b32 s3, 0
	s_cselect_b32 s3, -1, 0
	s_delay_alu instid0(SALU_CYCLE_1)
	s_and_b32 vcc_lo, exec_lo, s3
	s_xor_b32 s3, s3, -1
	s_cbranch_vccnz .LBB68_2
; %bb.1:
	s_load_b32 s12, s[12:13], 0x0
.LBB68_2:
	s_and_not1_b32 vcc_lo, exec_lo, s3
	s_cbranch_vccnz .LBB68_4
; %bb.3:
	s_load_b32 s14, s[14:15], 0x0
.LBB68_4:
	s_wait_kmcnt 0x0
	s_cmp_neq_f32 s12, 0
	s_cselect_b32 s3, -1, 0
	s_cmp_neq_f32 s14, 1.0
	s_cselect_b32 s4, -1, 0
	s_delay_alu instid0(SALU_CYCLE_1) | instskip(NEXT) | instid1(SALU_CYCLE_1)
	s_or_b32 s3, s3, s4
	s_and_not1_b32 vcc_lo, exec_lo, s3
	s_cbranch_vccnz .LBB68_27
; %bb.5:
	s_load_b64 s[4:5], s[0:1], 0x18
	s_wait_kmcnt 0x0
	s_cmp_eq_u64 s[4:5], 0
	s_cbranch_scc1 .LBB68_7
; %bb.6:
	s_mov_b32 s6, ttmp9
	s_ashr_i32 s7, ttmp9, 31
	s_delay_alu instid0(SALU_CYCLE_1) | instskip(NEXT) | instid1(SALU_CYCLE_1)
	s_lshl_b64 s[6:7], s[6:7], 2
	s_add_nc_u64 s[4:5], s[4:5], s[6:7]
	s_load_b32 s3, s[4:5], 0x0
	s_wait_kmcnt 0x0
	s_sub_co_i32 s24, s3, s2
	s_branch .LBB68_8
.LBB68_7:
	s_mov_b32 s24, ttmp9
.LBB68_8:
	s_load_b32 s16, s[0:1], 0x40
	v_lshrrev_b32_e32 v1, 5, v0
	s_mov_b32 s3, exec_lo
	s_wait_kmcnt 0x0
	s_delay_alu instid0(VALU_DEP_1)
	v_cmpx_gt_i32_e64 s16, v1
	s_cbranch_execz .LBB68_27
; %bb.9:
	s_clause 0x2
	s_load_b256 s[4:11], s[0:1], 0x20
	s_load_b64 s[18:19], s[0:1], 0x58
	s_load_b64 s[20:21], s[0:1], 0x48
	v_dual_mov_b32 v2, 0 :: v_dual_and_b32 v3, 31, v0
	v_mbcnt_lo_u32_b32 v0, -1, 0
	s_ashr_i32 s25, s24, 31
	s_load_b32 s13, s[0:1], 0x0
	s_lshl_b64 s[26:27], s[24:25], 3
	s_mov_b32 s3, 0
	v_xor_b32_e32 v4, 16, v0
	v_xor_b32_e32 v5, 8, v0
	;; [unrolled: 1-line block ×5, first 2 shown]
	v_cmp_gt_i32_e32 vcc_lo, 32, v4
	s_mov_b32 s17, s3
	v_mul_lo_u32 v15, s16, v1
	v_mul_lo_u32 v16, s16, v3
	s_wait_alu 0xfffe
	s_mul_u64 s[22:23], s[16:17], s[16:17]
	s_wait_kmcnt 0x0
	s_add_nc_u64 s[4:5], s[4:5], s[26:27]
	v_cndmask_b32_e32 v4, v0, v4, vcc_lo
	v_cmp_gt_i32_e32 vcc_lo, 32, v5
	s_add_nc_u64 s[26:27], s[6:7], s[26:27]
	s_cmp_eq_u64 s[6:7], 0
	s_add_nc_u64 s[6:7], s[4:5], 8
	v_cmp_gt_u32_e64 s0, s16, v3
	s_cselect_b32 s7, s7, s27
	s_cselect_b32 s6, s6, s26
	s_load_b64 s[26:27], s[4:5], 0x0
	s_load_b64 s[28:29], s[6:7], 0x0
	v_cndmask_b32_e32 v5, v0, v5, vcc_lo
	v_cmp_gt_i32_e32 vcc_lo, 32, v6
	s_cmp_lg_u32 s13, 0
	v_cmp_eq_u32_e64 s1, 31, v3
	s_cselect_b32 s13, -1, 0
	s_cmp_eq_f32 s14, 0
	s_wait_alu 0xfffd
	v_cndmask_b32_e32 v6, v0, v6, vcc_lo
	v_cmp_gt_i32_e32 vcc_lo, 32, v7
	v_lshlrev_b32_e32 v11, 2, v5
	s_cselect_b32 s15, -1, 0
	s_wait_alu 0xfffd
	v_cndmask_b32_e32 v7, v0, v7, vcc_lo
	v_cmp_gt_i32_e32 vcc_lo, 32, v8
	s_wait_alu 0xfffd
	s_delay_alu instid0(VALU_DEP_2)
	v_dual_cndmask_b32 v8, v0, v8 :: v_dual_lshlrev_b32 v13, 2, v7
	s_wait_kmcnt 0x0
	v_cmp_lt_i64_e64 s17, s[26:27], s[28:29]
	v_lshlrev_b32_e32 v0, 2, v4
	v_lshlrev_b32_e32 v12, 2, v6
	v_mov_b32_e32 v4, v2
	v_lshlrev_b32_e32 v14, 2, v8
	s_sub_nc_u64 s[4:5], s[26:27], s[2:3]
	s_sub_nc_u64 s[6:7], s[28:29], s[2:3]
	s_mul_i32 s28, s24, s16
	s_mul_u64 s[24:25], s[4:5], s[22:23]
	s_lshl_b32 s29, s16, 5
	s_branch .LBB68_11
.LBB68_10:                              ;   in Loop: Header=BB68_11 Depth=1
	s_wait_alu 0xfffe
	s_or_b32 exec_lo, exec_lo, s26
	v_add_nc_u32_e32 v1, 32, v1
	v_add_nc_u32_e32 v15, s29, v15
	s_delay_alu instid0(VALU_DEP_2) | instskip(SKIP_1) | instid1(SALU_CYCLE_1)
	v_cmp_le_i32_e32 vcc_lo, s16, v1
	s_or_b32 s3, vcc_lo, s3
	s_and_not1_b32 exec_lo, exec_lo, s3
	s_cbranch_execz .LBB68_27
.LBB68_11:                              ; =>This Loop Header: Depth=1
                                        ;     Child Loop BB68_15 Depth 2
                                        ;       Child Loop BB68_18 Depth 3
	v_mov_b32_e32 v17, 0
	s_and_not1_b32 vcc_lo, exec_lo, s17
	s_wait_alu 0xfffe
	s_cbranch_vccnz .LBB68_22
; %bb.12:                               ;   in Loop: Header=BB68_11 Depth=1
	v_ashrrev_i32_e32 v5, 31, v15
	v_add_co_u32 v18, vcc_lo, s24, v15
	v_mov_b32_e32 v17, 0
	s_mov_b64 s[26:27], s[4:5]
	s_wait_alu 0xfffd
	v_add_co_ci_u32_e64 v19, null, s25, v5, vcc_lo
	s_branch .LBB68_15
.LBB68_13:                              ;   in Loop: Header=BB68_15 Depth=2
	s_or_b32 exec_lo, exec_lo, s31
.LBB68_14:                              ;   in Loop: Header=BB68_15 Depth=2
	s_delay_alu instid0(SALU_CYCLE_1)
	s_or_b32 exec_lo, exec_lo, s30
	s_wait_alu 0xfffe
	s_add_nc_u64 s[26:27], s[26:27], 1
	v_add_co_u32 v18, vcc_lo, v18, s22
	s_wait_alu 0xfffe
	v_cmp_ge_i64_e64 s30, s[26:27], s[6:7]
	s_wait_alu 0xfffd
	v_add_co_ci_u32_e64 v19, null, s23, v19, vcc_lo
	s_and_b32 vcc_lo, exec_lo, s30
	s_wait_alu 0xfffe
	s_cbranch_vccnz .LBB68_22
.LBB68_15:                              ;   Parent Loop BB68_11 Depth=1
                                        ; =>  This Loop Header: Depth=2
                                        ;       Child Loop BB68_18 Depth 3
	s_and_saveexec_b32 s30, s0
	s_cbranch_execz .LBB68_14
; %bb.16:                               ;   in Loop: Header=BB68_15 Depth=2
	s_wait_alu 0xfffe
	s_lshl_b64 s[34:35], s[26:27], 2
	s_wait_dscnt 0x0
	v_mad_co_u64_u32 v[5:6], null, s22, s26, v[1:2]
	s_wait_alu 0xfffe
	s_add_nc_u64 s[34:35], s[8:9], s[34:35]
	s_mul_i32 s33, s23, s26
	s_load_b32 s31, s[34:35], 0x0
	s_mul_i32 s34, s22, s27
	v_mov_b32_e32 v8, v4
	v_dual_mov_b32 v20, v16 :: v_dual_mov_b32 v7, v3
	s_wait_alu 0xfffe
	v_add3_u32 v6, s34, s33, v6
	s_wait_kmcnt 0x0
	s_sub_co_i32 s31, s31, s2
	s_delay_alu instid0(SALU_CYCLE_1)
	s_mul_i32 s33, s31, s16
	s_mov_b32 s31, 0
	s_branch .LBB68_18
.LBB68_17:                              ;   in Loop: Header=BB68_18 Depth=3
	v_add_nc_u32_e32 v21, s33, v7
	s_delay_alu instid0(VALU_DEP_2) | instskip(SKIP_1) | instid1(VALU_DEP_3)
	v_lshlrev_b64_e32 v[9:10], 1, v[9:10]
	v_add_nc_u32_e32 v20, s29, v20
	v_ashrrev_i32_e32 v22, 31, v21
	s_delay_alu instid0(VALU_DEP_3) | instskip(SKIP_1) | instid1(VALU_DEP_4)
	v_add_co_u32 v9, vcc_lo, s10, v9
	s_wait_alu 0xfffd
	v_add_co_ci_u32_e64 v10, null, s11, v10, vcc_lo
	s_delay_alu instid0(VALU_DEP_3) | instskip(NEXT) | instid1(VALU_DEP_1)
	v_lshlrev_b64_e32 v[21:22], 1, v[21:22]
	v_add_co_u32 v21, vcc_lo, s20, v21
	s_wait_alu 0xfffd
	s_delay_alu instid0(VALU_DEP_2)
	v_add_co_ci_u32_e64 v22, null, s21, v22, vcc_lo
	global_load_u16 v9, v[9:10], off
	global_load_u16 v10, v[21:22], off
	v_add_co_u32 v7, vcc_lo, v7, 32
	s_wait_alu 0xfffd
	v_add_co_ci_u32_e64 v8, null, 0, v8, vcc_lo
	s_delay_alu instid0(VALU_DEP_2)
	v_cmp_le_i32_e32 vcc_lo, s16, v7
	s_or_b32 s31, vcc_lo, s31
	s_wait_loadcnt 0x1
	v_lshlrev_b32_e32 v9, 16, v9
	s_wait_loadcnt 0x0
	v_lshlrev_b32_e32 v10, 16, v10
	s_delay_alu instid0(VALU_DEP_1)
	v_fmac_f32_e32 v17, v9, v10
	s_and_not1_b32 exec_lo, exec_lo, s31
	s_cbranch_execz .LBB68_13
.LBB68_18:                              ;   Parent Loop BB68_11 Depth=1
                                        ;     Parent Loop BB68_15 Depth=2
                                        ; =>    This Inner Loop Header: Depth=3
	s_and_b32 vcc_lo, exec_lo, s13
	s_wait_alu 0xfffe
	s_cbranch_vccz .LBB68_20
; %bb.19:                               ;   in Loop: Header=BB68_18 Depth=3
	v_ashrrev_i32_e32 v10, 31, v20
	v_add_co_u32 v9, vcc_lo, v5, v20
	s_wait_alu 0xfffd
	s_delay_alu instid0(VALU_DEP_2)
	v_add_co_ci_u32_e64 v10, null, v6, v10, vcc_lo
	s_cbranch_execnz .LBB68_17
	s_branch .LBB68_21
.LBB68_20:                              ;   in Loop: Header=BB68_18 Depth=3
                                        ; implicit-def: $vgpr9_vgpr10
.LBB68_21:                              ;   in Loop: Header=BB68_18 Depth=3
	v_add_co_u32 v9, vcc_lo, v18, v7
	s_wait_alu 0xfffd
	v_add_co_ci_u32_e64 v10, null, v19, v8, vcc_lo
	s_branch .LBB68_17
.LBB68_22:                              ;   in Loop: Header=BB68_11 Depth=1
	ds_bpermute_b32 v5, v0, v17
	s_wait_dscnt 0x0
	v_add_f32_e32 v5, v17, v5
	ds_bpermute_b32 v6, v11, v5
	s_wait_dscnt 0x0
	v_add_f32_e32 v5, v5, v6
	;; [unrolled: 3-line block ×4, first 2 shown]
	ds_bpermute_b32 v6, v14, v5
	s_and_saveexec_b32 s26, s1
	s_cbranch_execz .LBB68_10
; %bb.23:                               ;   in Loop: Header=BB68_11 Depth=1
	s_wait_dscnt 0x0
	v_dual_add_f32 v6, v5, v6 :: v_dual_add_nc_u32 v5, s28, v1
	s_and_b32 vcc_lo, exec_lo, s15
	s_delay_alu instid0(VALU_DEP_1) | instskip(NEXT) | instid1(VALU_DEP_2)
	v_mul_f32_e32 v7, s12, v6
	v_ashrrev_i32_e32 v6, 31, v5
	s_wait_alu 0xfffe
	s_cbranch_vccz .LBB68_25
; %bb.24:                               ;   in Loop: Header=BB68_11 Depth=1
	s_delay_alu instid0(VALU_DEP_1) | instskip(NEXT) | instid1(VALU_DEP_1)
	v_lshlrev_b64_e32 v[8:9], 2, v[5:6]
	v_add_co_u32 v8, vcc_lo, s18, v8
	s_wait_alu 0xfffd
	s_delay_alu instid0(VALU_DEP_2)
	v_add_co_ci_u32_e64 v9, null, s19, v9, vcc_lo
	global_store_b32 v[8:9], v7, off
	s_cbranch_execnz .LBB68_10
	s_branch .LBB68_26
.LBB68_25:                              ;   in Loop: Header=BB68_11 Depth=1
.LBB68_26:                              ;   in Loop: Header=BB68_11 Depth=1
	s_delay_alu instid0(VALU_DEP_1) | instskip(NEXT) | instid1(VALU_DEP_1)
	v_lshlrev_b64_e32 v[5:6], 2, v[5:6]
	v_add_co_u32 v5, vcc_lo, s18, v5
	s_wait_alu 0xfffd
	s_delay_alu instid0(VALU_DEP_2)
	v_add_co_ci_u32_e64 v6, null, s19, v6, vcc_lo
	global_load_b32 v8, v[5:6], off
	s_wait_loadcnt 0x0
	v_fmac_f32_e32 v7, s14, v8
	global_store_b32 v[5:6], v7, off
	s_branch .LBB68_10
.LBB68_27:
	s_endpgm
	.section	.rodata,"a",@progbits
	.p2align	6, 0x0
	.amdhsa_kernel _ZN9rocsparseL22bsrxmvn_general_kernelILj1024ELj32Efli18rocsparse_bfloat16S1_fEEv20rocsparse_direction_NS_24const_host_device_scalarIT1_EET3_PKS6_PKT2_SB_S8_PKT4_S6_PKT5_S5_PT6_21rocsparse_index_base_b
		.amdhsa_group_segment_fixed_size 0
		.amdhsa_private_segment_fixed_size 0
		.amdhsa_kernarg_size 104
		.amdhsa_user_sgpr_count 2
		.amdhsa_user_sgpr_dispatch_ptr 0
		.amdhsa_user_sgpr_queue_ptr 0
		.amdhsa_user_sgpr_kernarg_segment_ptr 1
		.amdhsa_user_sgpr_dispatch_id 0
		.amdhsa_user_sgpr_private_segment_size 0
		.amdhsa_wavefront_size32 1
		.amdhsa_uses_dynamic_stack 0
		.amdhsa_enable_private_segment 0
		.amdhsa_system_sgpr_workgroup_id_x 1
		.amdhsa_system_sgpr_workgroup_id_y 0
		.amdhsa_system_sgpr_workgroup_id_z 0
		.amdhsa_system_sgpr_workgroup_info 0
		.amdhsa_system_vgpr_workitem_id 0
		.amdhsa_next_free_vgpr 23
		.amdhsa_next_free_sgpr 36
		.amdhsa_reserve_vcc 1
		.amdhsa_float_round_mode_32 0
		.amdhsa_float_round_mode_16_64 0
		.amdhsa_float_denorm_mode_32 3
		.amdhsa_float_denorm_mode_16_64 3
		.amdhsa_fp16_overflow 0
		.amdhsa_workgroup_processor_mode 1
		.amdhsa_memory_ordered 1
		.amdhsa_forward_progress 1
		.amdhsa_inst_pref_size 10
		.amdhsa_round_robin_scheduling 0
		.amdhsa_exception_fp_ieee_invalid_op 0
		.amdhsa_exception_fp_denorm_src 0
		.amdhsa_exception_fp_ieee_div_zero 0
		.amdhsa_exception_fp_ieee_overflow 0
		.amdhsa_exception_fp_ieee_underflow 0
		.amdhsa_exception_fp_ieee_inexact 0
		.amdhsa_exception_int_div_zero 0
	.end_amdhsa_kernel
	.section	.text._ZN9rocsparseL22bsrxmvn_general_kernelILj1024ELj32Efli18rocsparse_bfloat16S1_fEEv20rocsparse_direction_NS_24const_host_device_scalarIT1_EET3_PKS6_PKT2_SB_S8_PKT4_S6_PKT5_S5_PT6_21rocsparse_index_base_b,"axG",@progbits,_ZN9rocsparseL22bsrxmvn_general_kernelILj1024ELj32Efli18rocsparse_bfloat16S1_fEEv20rocsparse_direction_NS_24const_host_device_scalarIT1_EET3_PKS6_PKT2_SB_S8_PKT4_S6_PKT5_S5_PT6_21rocsparse_index_base_b,comdat
.Lfunc_end68:
	.size	_ZN9rocsparseL22bsrxmvn_general_kernelILj1024ELj32Efli18rocsparse_bfloat16S1_fEEv20rocsparse_direction_NS_24const_host_device_scalarIT1_EET3_PKS6_PKT2_SB_S8_PKT4_S6_PKT5_S5_PT6_21rocsparse_index_base_b, .Lfunc_end68-_ZN9rocsparseL22bsrxmvn_general_kernelILj1024ELj32Efli18rocsparse_bfloat16S1_fEEv20rocsparse_direction_NS_24const_host_device_scalarIT1_EET3_PKS6_PKT2_SB_S8_PKT4_S6_PKT5_S5_PT6_21rocsparse_index_base_b
                                        ; -- End function
	.set _ZN9rocsparseL22bsrxmvn_general_kernelILj1024ELj32Efli18rocsparse_bfloat16S1_fEEv20rocsparse_direction_NS_24const_host_device_scalarIT1_EET3_PKS6_PKT2_SB_S8_PKT4_S6_PKT5_S5_PT6_21rocsparse_index_base_b.num_vgpr, 23
	.set _ZN9rocsparseL22bsrxmvn_general_kernelILj1024ELj32Efli18rocsparse_bfloat16S1_fEEv20rocsparse_direction_NS_24const_host_device_scalarIT1_EET3_PKS6_PKT2_SB_S8_PKT4_S6_PKT5_S5_PT6_21rocsparse_index_base_b.num_agpr, 0
	.set _ZN9rocsparseL22bsrxmvn_general_kernelILj1024ELj32Efli18rocsparse_bfloat16S1_fEEv20rocsparse_direction_NS_24const_host_device_scalarIT1_EET3_PKS6_PKT2_SB_S8_PKT4_S6_PKT5_S5_PT6_21rocsparse_index_base_b.numbered_sgpr, 36
	.set _ZN9rocsparseL22bsrxmvn_general_kernelILj1024ELj32Efli18rocsparse_bfloat16S1_fEEv20rocsparse_direction_NS_24const_host_device_scalarIT1_EET3_PKS6_PKT2_SB_S8_PKT4_S6_PKT5_S5_PT6_21rocsparse_index_base_b.num_named_barrier, 0
	.set _ZN9rocsparseL22bsrxmvn_general_kernelILj1024ELj32Efli18rocsparse_bfloat16S1_fEEv20rocsparse_direction_NS_24const_host_device_scalarIT1_EET3_PKS6_PKT2_SB_S8_PKT4_S6_PKT5_S5_PT6_21rocsparse_index_base_b.private_seg_size, 0
	.set _ZN9rocsparseL22bsrxmvn_general_kernelILj1024ELj32Efli18rocsparse_bfloat16S1_fEEv20rocsparse_direction_NS_24const_host_device_scalarIT1_EET3_PKS6_PKT2_SB_S8_PKT4_S6_PKT5_S5_PT6_21rocsparse_index_base_b.uses_vcc, 1
	.set _ZN9rocsparseL22bsrxmvn_general_kernelILj1024ELj32Efli18rocsparse_bfloat16S1_fEEv20rocsparse_direction_NS_24const_host_device_scalarIT1_EET3_PKS6_PKT2_SB_S8_PKT4_S6_PKT5_S5_PT6_21rocsparse_index_base_b.uses_flat_scratch, 0
	.set _ZN9rocsparseL22bsrxmvn_general_kernelILj1024ELj32Efli18rocsparse_bfloat16S1_fEEv20rocsparse_direction_NS_24const_host_device_scalarIT1_EET3_PKS6_PKT2_SB_S8_PKT4_S6_PKT5_S5_PT6_21rocsparse_index_base_b.has_dyn_sized_stack, 0
	.set _ZN9rocsparseL22bsrxmvn_general_kernelILj1024ELj32Efli18rocsparse_bfloat16S1_fEEv20rocsparse_direction_NS_24const_host_device_scalarIT1_EET3_PKS6_PKT2_SB_S8_PKT4_S6_PKT5_S5_PT6_21rocsparse_index_base_b.has_recursion, 0
	.set _ZN9rocsparseL22bsrxmvn_general_kernelILj1024ELj32Efli18rocsparse_bfloat16S1_fEEv20rocsparse_direction_NS_24const_host_device_scalarIT1_EET3_PKS6_PKT2_SB_S8_PKT4_S6_PKT5_S5_PT6_21rocsparse_index_base_b.has_indirect_call, 0
	.section	.AMDGPU.csdata,"",@progbits
; Kernel info:
; codeLenInByte = 1248
; TotalNumSgprs: 38
; NumVgprs: 23
; ScratchSize: 0
; MemoryBound: 0
; FloatMode: 240
; IeeeMode: 1
; LDSByteSize: 0 bytes/workgroup (compile time only)
; SGPRBlocks: 0
; VGPRBlocks: 2
; NumSGPRsForWavesPerEU: 38
; NumVGPRsForWavesPerEU: 23
; Occupancy: 16
; WaveLimiterHint : 1
; COMPUTE_PGM_RSRC2:SCRATCH_EN: 0
; COMPUTE_PGM_RSRC2:USER_SGPR: 2
; COMPUTE_PGM_RSRC2:TRAP_HANDLER: 0
; COMPUTE_PGM_RSRC2:TGID_X_EN: 1
; COMPUTE_PGM_RSRC2:TGID_Y_EN: 0
; COMPUTE_PGM_RSRC2:TGID_Z_EN: 0
; COMPUTE_PGM_RSRC2:TIDIG_COMP_CNT: 0
	.section	.text._ZN9rocsparseL22bsrxmvn_general_kernelILj64ELj8Efll18rocsparse_bfloat16S1_fEEv20rocsparse_direction_NS_24const_host_device_scalarIT1_EET3_PKS6_PKT2_SB_S8_PKT4_S6_PKT5_S5_PT6_21rocsparse_index_base_b,"axG",@progbits,_ZN9rocsparseL22bsrxmvn_general_kernelILj64ELj8Efll18rocsparse_bfloat16S1_fEEv20rocsparse_direction_NS_24const_host_device_scalarIT1_EET3_PKS6_PKT2_SB_S8_PKT4_S6_PKT5_S5_PT6_21rocsparse_index_base_b,comdat
	.globl	_ZN9rocsparseL22bsrxmvn_general_kernelILj64ELj8Efll18rocsparse_bfloat16S1_fEEv20rocsparse_direction_NS_24const_host_device_scalarIT1_EET3_PKS6_PKT2_SB_S8_PKT4_S6_PKT5_S5_PT6_21rocsparse_index_base_b ; -- Begin function _ZN9rocsparseL22bsrxmvn_general_kernelILj64ELj8Efll18rocsparse_bfloat16S1_fEEv20rocsparse_direction_NS_24const_host_device_scalarIT1_EET3_PKS6_PKT2_SB_S8_PKT4_S6_PKT5_S5_PT6_21rocsparse_index_base_b
	.p2align	8
	.type	_ZN9rocsparseL22bsrxmvn_general_kernelILj64ELj8Efll18rocsparse_bfloat16S1_fEEv20rocsparse_direction_NS_24const_host_device_scalarIT1_EET3_PKS6_PKT2_SB_S8_PKT4_S6_PKT5_S5_PT6_21rocsparse_index_base_b,@function
_ZN9rocsparseL22bsrxmvn_general_kernelILj64ELj8Efll18rocsparse_bfloat16S1_fEEv20rocsparse_direction_NS_24const_host_device_scalarIT1_EET3_PKS6_PKT2_SB_S8_PKT4_S6_PKT5_S5_PT6_21rocsparse_index_base_b: ; @_ZN9rocsparseL22bsrxmvn_general_kernelILj64ELj8Efll18rocsparse_bfloat16S1_fEEv20rocsparse_direction_NS_24const_host_device_scalarIT1_EET3_PKS6_PKT2_SB_S8_PKT4_S6_PKT5_S5_PT6_21rocsparse_index_base_b
; %bb.0:
	s_clause 0x2
	s_load_b64 s[12:13], s[0:1], 0x60
	s_load_b64 s[14:15], s[0:1], 0x8
	;; [unrolled: 1-line block ×3, first 2 shown]
	s_wait_kmcnt 0x0
	s_bitcmp1_b32 s13, 0
	s_cselect_b32 s2, -1, 0
	s_delay_alu instid0(SALU_CYCLE_1)
	s_and_b32 vcc_lo, exec_lo, s2
	s_xor_b32 s2, s2, -1
	s_cbranch_vccnz .LBB69_2
; %bb.1:
	s_load_b32 s14, s[14:15], 0x0
.LBB69_2:
	s_and_not1_b32 vcc_lo, exec_lo, s2
	s_cbranch_vccnz .LBB69_4
; %bb.3:
	s_load_b32 s16, s[16:17], 0x0
.LBB69_4:
	s_wait_kmcnt 0x0
	s_cmp_neq_f32 s14, 0
	s_cselect_b32 s2, -1, 0
	s_cmp_neq_f32 s16, 1.0
	s_cselect_b32 s3, -1, 0
	s_delay_alu instid0(SALU_CYCLE_1)
	s_or_b32 s2, s2, s3
	s_mov_b32 s3, 0
	s_and_not1_b32 vcc_lo, exec_lo, s2
	s_cbranch_vccnz .LBB69_26
; %bb.5:
	s_load_b64 s[4:5], s[0:1], 0x18
	s_mov_b32 s2, ttmp9
	s_mov_b32 s13, s3
	s_wait_kmcnt 0x0
	s_cmp_eq_u64 s[4:5], 0
	s_cbranch_scc1 .LBB69_7
; %bb.6:
	s_lshl_b64 s[2:3], s[2:3], 3
	s_delay_alu instid0(SALU_CYCLE_1)
	s_add_nc_u64 s[2:3], s[4:5], s[2:3]
	s_load_b64 s[2:3], s[2:3], 0x0
	s_wait_kmcnt 0x0
	s_sub_nc_u64 s[2:3], s[2:3], s[12:13]
.LBB69_7:
	s_load_b64 s[18:19], s[0:1], 0x40
	v_lshrrev_b32_e32 v1, 3, v0
	v_mov_b32_e32 v2, 0
	s_mov_b32 s4, exec_lo
	s_wait_kmcnt 0x0
	s_delay_alu instid0(VALU_DEP_1)
	v_cmpx_gt_i64_e64 s[18:19], v[1:2]
	s_cbranch_execz .LBB69_26
; %bb.8:
	s_clause 0x2
	s_load_b256 s[4:11], s[0:1], 0x20
	s_load_b64 s[20:21], s[0:1], 0x48
	s_load_b64 s[22:23], s[0:1], 0x58
	s_lshl_b64 s[24:25], s[2:3], 3
	v_dual_mov_b32 v4, v2 :: v_dual_and_b32 v3, 7, v0
	v_mbcnt_lo_u32_b32 v0, -1, 0
	s_load_b32 s17, s[0:1], 0x0
	s_mul_u64 s[26:27], s[2:3], s[18:19]
	s_delay_alu instid0(VALU_DEP_2)
	v_cmp_eq_u32_e64 s1, 7, v3
	v_cmp_gt_u64_e64 s0, s[18:19], v[3:4]
	v_xor_b32_e32 v5, 4, v0
	v_xor_b32_e32 v6, 2, v0
	;; [unrolled: 1-line block ×3, first 2 shown]
	s_mov_b32 s15, 0
	s_delay_alu instid0(VALU_DEP_3)
	v_cmp_gt_i32_e32 vcc_lo, 32, v5
	v_lshlrev_b32_e32 v8, 1, v3
	s_wait_kmcnt 0x0
	s_add_nc_u64 s[4:5], s[4:5], s[24:25]
	v_cndmask_b32_e32 v5, v0, v5, vcc_lo
	s_load_b64 s[28:29], s[4:5], 0x0
	v_cmp_gt_i32_e32 vcc_lo, 32, v6
	s_add_nc_u64 s[2:3], s[6:7], s[24:25]
	s_cmp_eq_u64 s[6:7], 0
	s_add_nc_u64 s[4:5], s[4:5], 8
	s_wait_alu 0xfffd
	v_cndmask_b32_e32 v9, v0, v6, vcc_lo
	v_cmp_gt_i32_e32 vcc_lo, 32, v7
	s_cselect_b32 s3, s5, s3
	s_cselect_b32 s2, s4, s2
	s_cmp_lg_u32 s17, 0
	s_load_b64 s[24:25], s[2:3], 0x0
	v_dual_cndmask_b32 v7, v0, v7 :: v_dual_lshlrev_b32 v0, 2, v5
	v_lshlrev_b32_e32 v17, 2, v9
	s_cselect_b32 s3, -1, 0
	s_cmp_eq_f32 s16, 0
	s_delay_alu instid0(VALU_DEP_2) | instskip(SKIP_3) | instid1(SALU_CYCLE_1)
	v_lshlrev_b32_e32 v18, 2, v7
	s_cselect_b32 s17, -1, 0
	s_wait_kmcnt 0x0
	s_sub_nc_u64 s[4:5], s[28:29], s[12:13]
	v_mad_co_u64_u32 v[5:6], null, s18, s4, v[1:2]
	s_mul_i32 s2, s19, s4
	s_mul_i32 s6, s18, s5
	v_cmp_lt_i64_e64 s33, s[28:29], s[24:25]
	v_add3_u32 v7, s6, s2, v6
	v_mul_lo_u32 v9, s19, v5
	v_mad_co_u64_u32 v[5:6], null, s18, v5, 0
	s_lshl_b64 s[6:7], s[26:27], 2
	v_mul_lo_u32 v10, s18, v7
	v_add_co_u32 v7, s2, s20, v8
	s_wait_alu 0xf1ff
	v_add_co_ci_u32_e64 v8, null, s21, 0, s2
	s_wait_alu 0xfffe
	s_add_nc_u64 s[6:7], s[22:23], s[6:7]
	s_sub_nc_u64 s[20:21], s[24:25], s[12:13]
	s_lshl_b64 s[22:23], s[18:19], 1
	v_add3_u32 v6, v6, v10, v9
	s_lshl_b64 s[24:25], s[18:19], 3
	s_mul_u64 s[26:27], s[18:19], s[18:19]
	s_branch .LBB69_10
.LBB69_9:                               ;   in Loop: Header=BB69_10 Depth=1
	s_wait_alu 0xfffe
	s_or_b32 exec_lo, exec_lo, s2
	v_add_co_u32 v1, vcc_lo, v1, 8
	s_wait_alu 0xfffd
	v_add_co_ci_u32_e64 v2, null, 0, v2, vcc_lo
	v_add_co_u32 v5, s2, v5, s24
	s_wait_alu 0xf1ff
	v_add_co_ci_u32_e64 v6, null, s25, v6, s2
	s_delay_alu instid0(VALU_DEP_3)
	v_cmp_le_i64_e32 vcc_lo, s[18:19], v[1:2]
	s_or_b32 s15, vcc_lo, s15
	s_wait_alu 0xfffe
	s_and_not1_b32 exec_lo, exec_lo, s15
	s_cbranch_execz .LBB69_26
.LBB69_10:                              ; =>This Loop Header: Depth=1
                                        ;     Child Loop BB69_14 Depth 2
                                        ;       Child Loop BB69_17 Depth 3
	v_mov_b32_e32 v19, 0
	s_and_not1_b32 vcc_lo, exec_lo, s33
	s_wait_alu 0xfffe
	s_cbranch_vccnz .LBB69_21
; %bb.11:                               ;   in Loop: Header=BB69_10 Depth=1
	s_wait_dscnt 0x0
	v_dual_mov_b32 v19, 0 :: v_dual_mov_b32 v10, v6
	v_mov_b32_e32 v9, v5
	s_mov_b64 s[28:29], s[4:5]
	s_branch .LBB69_14
.LBB69_12:                              ;   in Loop: Header=BB69_14 Depth=2
	s_or_b32 exec_lo, exec_lo, s35
.LBB69_13:                              ;   in Loop: Header=BB69_14 Depth=2
	s_delay_alu instid0(SALU_CYCLE_1)
	s_or_b32 exec_lo, exec_lo, s34
	s_wait_alu 0xfffe
	s_add_nc_u64 s[28:29], s[28:29], 1
	v_add_co_u32 v9, vcc_lo, v9, s26
	s_wait_alu 0xfffe
	v_cmp_ge_i64_e64 s2, s[28:29], s[20:21]
	s_wait_alu 0xfffd
	v_add_co_ci_u32_e64 v10, null, s27, v10, vcc_lo
	s_and_b32 vcc_lo, exec_lo, s2
	s_wait_alu 0xfffe
	s_cbranch_vccnz .LBB69_21
.LBB69_14:                              ;   Parent Loop BB69_10 Depth=1
                                        ; =>  This Loop Header: Depth=2
                                        ;       Child Loop BB69_17 Depth 3
	s_and_saveexec_b32 s34, s0
	s_cbranch_execz .LBB69_13
; %bb.15:                               ;   in Loop: Header=BB69_14 Depth=2
	s_wait_alu 0xfffe
	s_lshl_b64 s[30:31], s[28:29], 3
	v_dual_mov_b32 v14, v4 :: v_dual_mov_b32 v13, v3
	s_wait_alu 0xfffe
	s_add_nc_u64 s[30:31], s[8:9], s[30:31]
	s_mov_b32 s35, 0
	s_load_b64 s[30:31], s[30:31], 0x0
	s_wait_kmcnt 0x0
	s_sub_nc_u64 s[30:31], s[30:31], s[12:13]
	s_wait_alu 0xfffe
	v_mad_co_u64_u32 v[11:12], null, s22, s30, v[7:8]
	s_mul_i32 s2, s23, s30
	s_mul_i32 s30, s22, s31
	s_wait_alu 0xfffe
	v_add3_u32 v12, s30, s2, v12
	s_mul_u64 s[30:31], s[28:29], s[18:19]
	s_branch .LBB69_17
.LBB69_16:                              ;   in Loop: Header=BB69_17 Depth=3
	s_delay_alu instid0(VALU_DEP_1) | instskip(NEXT) | instid1(VALU_DEP_1)
	v_lshlrev_b64_e32 v[15:16], 1, v[15:16]
	v_add_co_u32 v15, vcc_lo, s10, v15
	s_wait_alu 0xfffd
	s_delay_alu instid0(VALU_DEP_2)
	v_add_co_ci_u32_e64 v16, null, s11, v16, vcc_lo
	v_add_co_u32 v13, vcc_lo, v13, 8
	global_load_u16 v20, v[11:12], off
	global_load_u16 v15, v[15:16], off
	s_wait_alu 0xfffd
	v_add_co_ci_u32_e64 v14, null, 0, v14, vcc_lo
	v_add_co_u32 v11, s2, v11, 16
	s_wait_alu 0xf1ff
	v_add_co_ci_u32_e64 v12, null, 0, v12, s2
	s_delay_alu instid0(VALU_DEP_3)
	v_cmp_le_i64_e32 vcc_lo, s[18:19], v[13:14]
	s_or_b32 s35, vcc_lo, s35
	s_wait_loadcnt 0x1
	v_lshlrev_b32_e32 v16, 16, v20
	s_wait_loadcnt 0x0
	v_lshlrev_b32_e32 v15, 16, v15
	s_delay_alu instid0(VALU_DEP_1)
	v_fmac_f32_e32 v19, v15, v16
	s_and_not1_b32 exec_lo, exec_lo, s35
	s_cbranch_execz .LBB69_12
.LBB69_17:                              ;   Parent Loop BB69_10 Depth=1
                                        ;     Parent Loop BB69_14 Depth=2
                                        ; =>    This Inner Loop Header: Depth=3
	s_and_b32 vcc_lo, exec_lo, s3
	s_wait_alu 0xfffe
	s_cbranch_vccz .LBB69_19
; %bb.18:                               ;   in Loop: Header=BB69_17 Depth=3
	v_add_co_u32 v15, vcc_lo, v13, s30
	s_wait_alu 0xfffd
	v_add_co_ci_u32_e64 v16, null, s31, v14, vcc_lo
	s_delay_alu instid0(VALU_DEP_2) | instskip(NEXT) | instid1(VALU_DEP_2)
	v_mul_lo_u32 v20, v15, s19
	v_mul_lo_u32 v21, v16, s18
	v_mad_co_u64_u32 v[15:16], null, v15, s18, v[1:2]
	s_delay_alu instid0(VALU_DEP_1)
	v_add3_u32 v16, v21, v16, v20
	s_cbranch_execnz .LBB69_16
	s_branch .LBB69_20
.LBB69_19:                              ;   in Loop: Header=BB69_17 Depth=3
                                        ; implicit-def: $vgpr15_vgpr16
.LBB69_20:                              ;   in Loop: Header=BB69_17 Depth=3
	v_add_co_u32 v15, vcc_lo, v9, v13
	s_wait_alu 0xfffd
	v_add_co_ci_u32_e64 v16, null, v10, v14, vcc_lo
	s_branch .LBB69_16
.LBB69_21:                              ;   in Loop: Header=BB69_10 Depth=1
	ds_bpermute_b32 v9, v0, v19
	s_wait_dscnt 0x0
	v_add_f32_e32 v9, v19, v9
	ds_bpermute_b32 v10, v17, v9
	s_wait_dscnt 0x0
	v_add_f32_e32 v9, v9, v10
	ds_bpermute_b32 v10, v18, v9
	s_and_saveexec_b32 s2, s1
	s_cbranch_execz .LBB69_9
; %bb.22:                               ;   in Loop: Header=BB69_10 Depth=1
	s_wait_dscnt 0x0
	v_add_f32_e32 v11, v9, v10
	v_lshlrev_b64_e32 v[9:10], 2, v[1:2]
	s_and_b32 vcc_lo, exec_lo, s17
	s_delay_alu instid0(VALU_DEP_2)
	v_mul_f32_e32 v11, s14, v11
	s_wait_alu 0xfffe
	s_cbranch_vccz .LBB69_24
; %bb.23:                               ;   in Loop: Header=BB69_10 Depth=1
	s_delay_alu instid0(VALU_DEP_2)
	v_add_co_u32 v12, vcc_lo, s6, v9
	s_wait_alu 0xfffd
	v_add_co_ci_u32_e64 v13, null, s7, v10, vcc_lo
	global_store_b32 v[12:13], v11, off
	s_cbranch_execnz .LBB69_9
	s_branch .LBB69_25
.LBB69_24:                              ;   in Loop: Header=BB69_10 Depth=1
.LBB69_25:                              ;   in Loop: Header=BB69_10 Depth=1
	s_delay_alu instid0(VALU_DEP_2)
	v_add_co_u32 v9, vcc_lo, s6, v9
	s_wait_alu 0xfffd
	v_add_co_ci_u32_e64 v10, null, s7, v10, vcc_lo
	global_load_b32 v12, v[9:10], off
	s_wait_loadcnt 0x0
	v_fmac_f32_e32 v11, s16, v12
	global_store_b32 v[9:10], v11, off
	s_branch .LBB69_9
.LBB69_26:
	s_endpgm
	.section	.rodata,"a",@progbits
	.p2align	6, 0x0
	.amdhsa_kernel _ZN9rocsparseL22bsrxmvn_general_kernelILj64ELj8Efll18rocsparse_bfloat16S1_fEEv20rocsparse_direction_NS_24const_host_device_scalarIT1_EET3_PKS6_PKT2_SB_S8_PKT4_S6_PKT5_S5_PT6_21rocsparse_index_base_b
		.amdhsa_group_segment_fixed_size 0
		.amdhsa_private_segment_fixed_size 0
		.amdhsa_kernarg_size 104
		.amdhsa_user_sgpr_count 2
		.amdhsa_user_sgpr_dispatch_ptr 0
		.amdhsa_user_sgpr_queue_ptr 0
		.amdhsa_user_sgpr_kernarg_segment_ptr 1
		.amdhsa_user_sgpr_dispatch_id 0
		.amdhsa_user_sgpr_private_segment_size 0
		.amdhsa_wavefront_size32 1
		.amdhsa_uses_dynamic_stack 0
		.amdhsa_enable_private_segment 0
		.amdhsa_system_sgpr_workgroup_id_x 1
		.amdhsa_system_sgpr_workgroup_id_y 0
		.amdhsa_system_sgpr_workgroup_id_z 0
		.amdhsa_system_sgpr_workgroup_info 0
		.amdhsa_system_vgpr_workitem_id 0
		.amdhsa_next_free_vgpr 22
		.amdhsa_next_free_sgpr 36
		.amdhsa_reserve_vcc 1
		.amdhsa_float_round_mode_32 0
		.amdhsa_float_round_mode_16_64 0
		.amdhsa_float_denorm_mode_32 3
		.amdhsa_float_denorm_mode_16_64 3
		.amdhsa_fp16_overflow 0
		.amdhsa_workgroup_processor_mode 1
		.amdhsa_memory_ordered 1
		.amdhsa_forward_progress 1
		.amdhsa_inst_pref_size 10
		.amdhsa_round_robin_scheduling 0
		.amdhsa_exception_fp_ieee_invalid_op 0
		.amdhsa_exception_fp_denorm_src 0
		.amdhsa_exception_fp_ieee_div_zero 0
		.amdhsa_exception_fp_ieee_overflow 0
		.amdhsa_exception_fp_ieee_underflow 0
		.amdhsa_exception_fp_ieee_inexact 0
		.amdhsa_exception_int_div_zero 0
	.end_amdhsa_kernel
	.section	.text._ZN9rocsparseL22bsrxmvn_general_kernelILj64ELj8Efll18rocsparse_bfloat16S1_fEEv20rocsparse_direction_NS_24const_host_device_scalarIT1_EET3_PKS6_PKT2_SB_S8_PKT4_S6_PKT5_S5_PT6_21rocsparse_index_base_b,"axG",@progbits,_ZN9rocsparseL22bsrxmvn_general_kernelILj64ELj8Efll18rocsparse_bfloat16S1_fEEv20rocsparse_direction_NS_24const_host_device_scalarIT1_EET3_PKS6_PKT2_SB_S8_PKT4_S6_PKT5_S5_PT6_21rocsparse_index_base_b,comdat
.Lfunc_end69:
	.size	_ZN9rocsparseL22bsrxmvn_general_kernelILj64ELj8Efll18rocsparse_bfloat16S1_fEEv20rocsparse_direction_NS_24const_host_device_scalarIT1_EET3_PKS6_PKT2_SB_S8_PKT4_S6_PKT5_S5_PT6_21rocsparse_index_base_b, .Lfunc_end69-_ZN9rocsparseL22bsrxmvn_general_kernelILj64ELj8Efll18rocsparse_bfloat16S1_fEEv20rocsparse_direction_NS_24const_host_device_scalarIT1_EET3_PKS6_PKT2_SB_S8_PKT4_S6_PKT5_S5_PT6_21rocsparse_index_base_b
                                        ; -- End function
	.set _ZN9rocsparseL22bsrxmvn_general_kernelILj64ELj8Efll18rocsparse_bfloat16S1_fEEv20rocsparse_direction_NS_24const_host_device_scalarIT1_EET3_PKS6_PKT2_SB_S8_PKT4_S6_PKT5_S5_PT6_21rocsparse_index_base_b.num_vgpr, 22
	.set _ZN9rocsparseL22bsrxmvn_general_kernelILj64ELj8Efll18rocsparse_bfloat16S1_fEEv20rocsparse_direction_NS_24const_host_device_scalarIT1_EET3_PKS6_PKT2_SB_S8_PKT4_S6_PKT5_S5_PT6_21rocsparse_index_base_b.num_agpr, 0
	.set _ZN9rocsparseL22bsrxmvn_general_kernelILj64ELj8Efll18rocsparse_bfloat16S1_fEEv20rocsparse_direction_NS_24const_host_device_scalarIT1_EET3_PKS6_PKT2_SB_S8_PKT4_S6_PKT5_S5_PT6_21rocsparse_index_base_b.numbered_sgpr, 36
	.set _ZN9rocsparseL22bsrxmvn_general_kernelILj64ELj8Efll18rocsparse_bfloat16S1_fEEv20rocsparse_direction_NS_24const_host_device_scalarIT1_EET3_PKS6_PKT2_SB_S8_PKT4_S6_PKT5_S5_PT6_21rocsparse_index_base_b.num_named_barrier, 0
	.set _ZN9rocsparseL22bsrxmvn_general_kernelILj64ELj8Efll18rocsparse_bfloat16S1_fEEv20rocsparse_direction_NS_24const_host_device_scalarIT1_EET3_PKS6_PKT2_SB_S8_PKT4_S6_PKT5_S5_PT6_21rocsparse_index_base_b.private_seg_size, 0
	.set _ZN9rocsparseL22bsrxmvn_general_kernelILj64ELj8Efll18rocsparse_bfloat16S1_fEEv20rocsparse_direction_NS_24const_host_device_scalarIT1_EET3_PKS6_PKT2_SB_S8_PKT4_S6_PKT5_S5_PT6_21rocsparse_index_base_b.uses_vcc, 1
	.set _ZN9rocsparseL22bsrxmvn_general_kernelILj64ELj8Efll18rocsparse_bfloat16S1_fEEv20rocsparse_direction_NS_24const_host_device_scalarIT1_EET3_PKS6_PKT2_SB_S8_PKT4_S6_PKT5_S5_PT6_21rocsparse_index_base_b.uses_flat_scratch, 0
	.set _ZN9rocsparseL22bsrxmvn_general_kernelILj64ELj8Efll18rocsparse_bfloat16S1_fEEv20rocsparse_direction_NS_24const_host_device_scalarIT1_EET3_PKS6_PKT2_SB_S8_PKT4_S6_PKT5_S5_PT6_21rocsparse_index_base_b.has_dyn_sized_stack, 0
	.set _ZN9rocsparseL22bsrxmvn_general_kernelILj64ELj8Efll18rocsparse_bfloat16S1_fEEv20rocsparse_direction_NS_24const_host_device_scalarIT1_EET3_PKS6_PKT2_SB_S8_PKT4_S6_PKT5_S5_PT6_21rocsparse_index_base_b.has_recursion, 0
	.set _ZN9rocsparseL22bsrxmvn_general_kernelILj64ELj8Efll18rocsparse_bfloat16S1_fEEv20rocsparse_direction_NS_24const_host_device_scalarIT1_EET3_PKS6_PKT2_SB_S8_PKT4_S6_PKT5_S5_PT6_21rocsparse_index_base_b.has_indirect_call, 0
	.section	.AMDGPU.csdata,"",@progbits
; Kernel info:
; codeLenInByte = 1248
; TotalNumSgprs: 38
; NumVgprs: 22
; ScratchSize: 0
; MemoryBound: 0
; FloatMode: 240
; IeeeMode: 1
; LDSByteSize: 0 bytes/workgroup (compile time only)
; SGPRBlocks: 0
; VGPRBlocks: 2
; NumSGPRsForWavesPerEU: 38
; NumVGPRsForWavesPerEU: 22
; Occupancy: 16
; WaveLimiterHint : 0
; COMPUTE_PGM_RSRC2:SCRATCH_EN: 0
; COMPUTE_PGM_RSRC2:USER_SGPR: 2
; COMPUTE_PGM_RSRC2:TRAP_HANDLER: 0
; COMPUTE_PGM_RSRC2:TGID_X_EN: 1
; COMPUTE_PGM_RSRC2:TGID_Y_EN: 0
; COMPUTE_PGM_RSRC2:TGID_Z_EN: 0
; COMPUTE_PGM_RSRC2:TIDIG_COMP_CNT: 0
	.section	.text._ZN9rocsparseL22bsrxmvn_general_kernelILj256ELj16Efll18rocsparse_bfloat16S1_fEEv20rocsparse_direction_NS_24const_host_device_scalarIT1_EET3_PKS6_PKT2_SB_S8_PKT4_S6_PKT5_S5_PT6_21rocsparse_index_base_b,"axG",@progbits,_ZN9rocsparseL22bsrxmvn_general_kernelILj256ELj16Efll18rocsparse_bfloat16S1_fEEv20rocsparse_direction_NS_24const_host_device_scalarIT1_EET3_PKS6_PKT2_SB_S8_PKT4_S6_PKT5_S5_PT6_21rocsparse_index_base_b,comdat
	.globl	_ZN9rocsparseL22bsrxmvn_general_kernelILj256ELj16Efll18rocsparse_bfloat16S1_fEEv20rocsparse_direction_NS_24const_host_device_scalarIT1_EET3_PKS6_PKT2_SB_S8_PKT4_S6_PKT5_S5_PT6_21rocsparse_index_base_b ; -- Begin function _ZN9rocsparseL22bsrxmvn_general_kernelILj256ELj16Efll18rocsparse_bfloat16S1_fEEv20rocsparse_direction_NS_24const_host_device_scalarIT1_EET3_PKS6_PKT2_SB_S8_PKT4_S6_PKT5_S5_PT6_21rocsparse_index_base_b
	.p2align	8
	.type	_ZN9rocsparseL22bsrxmvn_general_kernelILj256ELj16Efll18rocsparse_bfloat16S1_fEEv20rocsparse_direction_NS_24const_host_device_scalarIT1_EET3_PKS6_PKT2_SB_S8_PKT4_S6_PKT5_S5_PT6_21rocsparse_index_base_b,@function
_ZN9rocsparseL22bsrxmvn_general_kernelILj256ELj16Efll18rocsparse_bfloat16S1_fEEv20rocsparse_direction_NS_24const_host_device_scalarIT1_EET3_PKS6_PKT2_SB_S8_PKT4_S6_PKT5_S5_PT6_21rocsparse_index_base_b: ; @_ZN9rocsparseL22bsrxmvn_general_kernelILj256ELj16Efll18rocsparse_bfloat16S1_fEEv20rocsparse_direction_NS_24const_host_device_scalarIT1_EET3_PKS6_PKT2_SB_S8_PKT4_S6_PKT5_S5_PT6_21rocsparse_index_base_b
; %bb.0:
	s_clause 0x2
	s_load_b64 s[12:13], s[0:1], 0x60
	s_load_b64 s[14:15], s[0:1], 0x8
	;; [unrolled: 1-line block ×3, first 2 shown]
	s_wait_kmcnt 0x0
	s_bitcmp1_b32 s13, 0
	s_cselect_b32 s2, -1, 0
	s_delay_alu instid0(SALU_CYCLE_1)
	s_and_b32 vcc_lo, exec_lo, s2
	s_xor_b32 s2, s2, -1
	s_cbranch_vccnz .LBB70_2
; %bb.1:
	s_load_b32 s14, s[14:15], 0x0
.LBB70_2:
	s_and_not1_b32 vcc_lo, exec_lo, s2
	s_cbranch_vccnz .LBB70_4
; %bb.3:
	s_load_b32 s16, s[16:17], 0x0
.LBB70_4:
	s_wait_kmcnt 0x0
	s_cmp_neq_f32 s14, 0
	s_cselect_b32 s2, -1, 0
	s_cmp_neq_f32 s16, 1.0
	s_cselect_b32 s3, -1, 0
	s_delay_alu instid0(SALU_CYCLE_1)
	s_or_b32 s2, s2, s3
	s_mov_b32 s3, 0
	s_and_not1_b32 vcc_lo, exec_lo, s2
	s_cbranch_vccnz .LBB70_26
; %bb.5:
	s_load_b64 s[4:5], s[0:1], 0x18
	s_mov_b32 s2, ttmp9
	s_mov_b32 s13, s3
	s_wait_kmcnt 0x0
	s_cmp_eq_u64 s[4:5], 0
	s_cbranch_scc1 .LBB70_7
; %bb.6:
	s_lshl_b64 s[2:3], s[2:3], 3
	s_delay_alu instid0(SALU_CYCLE_1)
	s_add_nc_u64 s[2:3], s[4:5], s[2:3]
	s_load_b64 s[2:3], s[2:3], 0x0
	s_wait_kmcnt 0x0
	s_sub_nc_u64 s[2:3], s[2:3], s[12:13]
.LBB70_7:
	s_load_b64 s[18:19], s[0:1], 0x40
	v_lshrrev_b32_e32 v1, 4, v0
	v_mov_b32_e32 v2, 0
	s_mov_b32 s4, exec_lo
	s_wait_kmcnt 0x0
	s_delay_alu instid0(VALU_DEP_1)
	v_cmpx_gt_i64_e64 s[18:19], v[1:2]
	s_cbranch_execz .LBB70_26
; %bb.8:
	s_clause 0x2
	s_load_b256 s[4:11], s[0:1], 0x20
	s_load_b64 s[20:21], s[0:1], 0x48
	s_load_b64 s[22:23], s[0:1], 0x58
	v_dual_mov_b32 v4, v2 :: v_dual_and_b32 v3, 15, v0
	v_mbcnt_lo_u32_b32 v0, -1, 0
	s_lshl_b64 s[24:25], s[2:3], 3
	s_mul_u64 s[26:27], s[2:3], s[18:19]
	s_load_b32 s17, s[0:1], 0x0
	v_cmp_gt_u64_e64 s0, s[18:19], v[3:4]
	v_xor_b32_e32 v5, 8, v0
	v_xor_b32_e32 v6, 4, v0
	;; [unrolled: 1-line block ×4, first 2 shown]
	v_cmp_eq_u32_e64 s1, 15, v3
	v_cmp_gt_i32_e32 vcc_lo, 32, v5
	s_mov_b32 s15, 0
	v_cndmask_b32_e32 v5, v0, v5, vcc_lo
	s_wait_kmcnt 0x0
	s_add_nc_u64 s[2:3], s[4:5], s[24:25]
	v_cmp_gt_i32_e32 vcc_lo, 32, v6
	s_load_b64 s[28:29], s[2:3], 0x0
	v_lshlrev_b32_e32 v9, 1, v3
	s_add_nc_u64 s[4:5], s[6:7], s[24:25]
	s_cmp_eq_u64 s[6:7], 0
	v_cndmask_b32_e32 v6, v0, v6, vcc_lo
	v_cmp_gt_i32_e32 vcc_lo, 32, v7
	s_add_nc_u64 s[2:3], s[2:3], 8
	s_delay_alu instid0(SALU_CYCLE_1)
	s_cselect_b32 s3, s3, s5
	s_cselect_b32 s2, s2, s4
	s_wait_alu 0xfffd
	v_cndmask_b32_e32 v7, v0, v7, vcc_lo
	v_cmp_gt_i32_e32 vcc_lo, 32, v8
	v_lshlrev_b32_e32 v17, 2, v6
	s_load_b64 s[24:25], s[2:3], 0x0
	s_cmp_lg_u32 s17, 0
	v_lshlrev_b32_e32 v18, 2, v7
	v_cndmask_b32_e32 v8, v0, v8, vcc_lo
	v_lshlrev_b32_e32 v0, 2, v5
	s_cselect_b32 s3, -1, 0
	s_cmp_eq_f32 s16, 0
	s_wait_kmcnt 0x0
	s_sub_nc_u64 s[4:5], s[28:29], s[12:13]
	v_lshlrev_b32_e32 v19, 2, v8
	v_mad_co_u64_u32 v[5:6], null, s18, s4, v[1:2]
	s_mul_i32 s2, s19, s4
	s_mul_i32 s6, s18, s5
	s_cselect_b32 s17, -1, 0
	v_add3_u32 v7, s6, s2, v6
	v_mul_lo_u32 v10, s19, v5
	v_mad_co_u64_u32 v[5:6], null, s18, v5, 0
	v_cmp_lt_i64_e64 s33, s[28:29], s[24:25]
	s_delay_alu instid0(VALU_DEP_4)
	v_mul_lo_u32 v11, s18, v7
	v_add_co_u32 v7, s2, s20, v9
	s_wait_alu 0xf1ff
	v_add_co_ci_u32_e64 v8, null, s21, 0, s2
	s_lshl_b64 s[6:7], s[26:27], 2
	s_sub_nc_u64 s[20:21], s[24:25], s[12:13]
	s_wait_alu 0xfffe
	s_add_nc_u64 s[6:7], s[22:23], s[6:7]
	v_add3_u32 v6, v6, v11, v10
	s_lshl_b64 s[22:23], s[18:19], 1
	s_lshl_b64 s[24:25], s[18:19], 4
	s_mul_u64 s[26:27], s[18:19], s[18:19]
	s_branch .LBB70_10
.LBB70_9:                               ;   in Loop: Header=BB70_10 Depth=1
	s_wait_alu 0xfffe
	s_or_b32 exec_lo, exec_lo, s2
	v_add_co_u32 v1, vcc_lo, v1, 16
	s_wait_alu 0xfffd
	v_add_co_ci_u32_e64 v2, null, 0, v2, vcc_lo
	v_add_co_u32 v5, s2, v5, s24
	s_wait_alu 0xf1ff
	v_add_co_ci_u32_e64 v6, null, s25, v6, s2
	s_delay_alu instid0(VALU_DEP_3)
	v_cmp_le_i64_e32 vcc_lo, s[18:19], v[1:2]
	s_or_b32 s15, vcc_lo, s15
	s_wait_alu 0xfffe
	s_and_not1_b32 exec_lo, exec_lo, s15
	s_cbranch_execz .LBB70_26
.LBB70_10:                              ; =>This Loop Header: Depth=1
                                        ;     Child Loop BB70_14 Depth 2
                                        ;       Child Loop BB70_17 Depth 3
	v_mov_b32_e32 v20, 0
	s_and_not1_b32 vcc_lo, exec_lo, s33
	s_wait_alu 0xfffe
	s_cbranch_vccnz .LBB70_21
; %bb.11:                               ;   in Loop: Header=BB70_10 Depth=1
	s_wait_dscnt 0x0
	v_mov_b32_e32 v10, v6
	v_dual_mov_b32 v20, 0 :: v_dual_mov_b32 v9, v5
	s_mov_b64 s[28:29], s[4:5]
	s_branch .LBB70_14
.LBB70_12:                              ;   in Loop: Header=BB70_14 Depth=2
	s_or_b32 exec_lo, exec_lo, s35
.LBB70_13:                              ;   in Loop: Header=BB70_14 Depth=2
	s_delay_alu instid0(SALU_CYCLE_1)
	s_or_b32 exec_lo, exec_lo, s34
	s_wait_alu 0xfffe
	s_add_nc_u64 s[28:29], s[28:29], 1
	v_add_co_u32 v9, vcc_lo, v9, s26
	s_wait_alu 0xfffe
	v_cmp_ge_i64_e64 s2, s[28:29], s[20:21]
	s_wait_alu 0xfffd
	v_add_co_ci_u32_e64 v10, null, s27, v10, vcc_lo
	s_and_b32 vcc_lo, exec_lo, s2
	s_wait_alu 0xfffe
	s_cbranch_vccnz .LBB70_21
.LBB70_14:                              ;   Parent Loop BB70_10 Depth=1
                                        ; =>  This Loop Header: Depth=2
                                        ;       Child Loop BB70_17 Depth 3
	s_and_saveexec_b32 s34, s0
	s_cbranch_execz .LBB70_13
; %bb.15:                               ;   in Loop: Header=BB70_14 Depth=2
	s_wait_alu 0xfffe
	s_lshl_b64 s[30:31], s[28:29], 3
	v_dual_mov_b32 v14, v4 :: v_dual_mov_b32 v13, v3
	s_wait_alu 0xfffe
	s_add_nc_u64 s[30:31], s[8:9], s[30:31]
	s_mov_b32 s35, 0
	s_load_b64 s[30:31], s[30:31], 0x0
	s_wait_kmcnt 0x0
	s_sub_nc_u64 s[30:31], s[30:31], s[12:13]
	s_wait_alu 0xfffe
	v_mad_co_u64_u32 v[11:12], null, s22, s30, v[7:8]
	s_mul_i32 s2, s23, s30
	s_mul_i32 s30, s22, s31
	s_wait_alu 0xfffe
	v_add3_u32 v12, s30, s2, v12
	s_mul_u64 s[30:31], s[28:29], s[18:19]
	s_branch .LBB70_17
.LBB70_16:                              ;   in Loop: Header=BB70_17 Depth=3
	s_delay_alu instid0(VALU_DEP_1) | instskip(NEXT) | instid1(VALU_DEP_1)
	v_lshlrev_b64_e32 v[15:16], 1, v[15:16]
	v_add_co_u32 v15, vcc_lo, s10, v15
	s_wait_alu 0xfffd
	s_delay_alu instid0(VALU_DEP_2)
	v_add_co_ci_u32_e64 v16, null, s11, v16, vcc_lo
	v_add_co_u32 v13, vcc_lo, v13, 16
	global_load_u16 v21, v[11:12], off
	global_load_u16 v15, v[15:16], off
	s_wait_alu 0xfffd
	v_add_co_ci_u32_e64 v14, null, 0, v14, vcc_lo
	v_add_co_u32 v11, s2, v11, 32
	s_wait_alu 0xf1ff
	v_add_co_ci_u32_e64 v12, null, 0, v12, s2
	s_delay_alu instid0(VALU_DEP_3)
	v_cmp_le_i64_e32 vcc_lo, s[18:19], v[13:14]
	s_or_b32 s35, vcc_lo, s35
	s_wait_loadcnt 0x1
	v_lshlrev_b32_e32 v16, 16, v21
	s_wait_loadcnt 0x0
	v_lshlrev_b32_e32 v15, 16, v15
	s_delay_alu instid0(VALU_DEP_1)
	v_fmac_f32_e32 v20, v15, v16
	s_and_not1_b32 exec_lo, exec_lo, s35
	s_cbranch_execz .LBB70_12
.LBB70_17:                              ;   Parent Loop BB70_10 Depth=1
                                        ;     Parent Loop BB70_14 Depth=2
                                        ; =>    This Inner Loop Header: Depth=3
	s_and_b32 vcc_lo, exec_lo, s3
	s_wait_alu 0xfffe
	s_cbranch_vccz .LBB70_19
; %bb.18:                               ;   in Loop: Header=BB70_17 Depth=3
	v_add_co_u32 v15, vcc_lo, v13, s30
	s_wait_alu 0xfffd
	v_add_co_ci_u32_e64 v16, null, s31, v14, vcc_lo
	s_delay_alu instid0(VALU_DEP_2) | instskip(NEXT) | instid1(VALU_DEP_2)
	v_mul_lo_u32 v21, v15, s19
	v_mul_lo_u32 v22, v16, s18
	v_mad_co_u64_u32 v[15:16], null, v15, s18, v[1:2]
	s_delay_alu instid0(VALU_DEP_1)
	v_add3_u32 v16, v22, v16, v21
	s_cbranch_execnz .LBB70_16
	s_branch .LBB70_20
.LBB70_19:                              ;   in Loop: Header=BB70_17 Depth=3
                                        ; implicit-def: $vgpr15_vgpr16
.LBB70_20:                              ;   in Loop: Header=BB70_17 Depth=3
	v_add_co_u32 v15, vcc_lo, v9, v13
	s_wait_alu 0xfffd
	v_add_co_ci_u32_e64 v16, null, v10, v14, vcc_lo
	s_branch .LBB70_16
.LBB70_21:                              ;   in Loop: Header=BB70_10 Depth=1
	ds_bpermute_b32 v9, v0, v20
	s_wait_dscnt 0x0
	v_add_f32_e32 v9, v20, v9
	ds_bpermute_b32 v10, v17, v9
	s_wait_dscnt 0x0
	v_add_f32_e32 v9, v9, v10
	ds_bpermute_b32 v10, v18, v9
	s_wait_dscnt 0x0
	v_add_f32_e32 v9, v9, v10
	ds_bpermute_b32 v10, v19, v9
	s_and_saveexec_b32 s2, s1
	s_cbranch_execz .LBB70_9
; %bb.22:                               ;   in Loop: Header=BB70_10 Depth=1
	s_wait_dscnt 0x0
	v_add_f32_e32 v11, v9, v10
	v_lshlrev_b64_e32 v[9:10], 2, v[1:2]
	s_and_b32 vcc_lo, exec_lo, s17
	s_delay_alu instid0(VALU_DEP_2)
	v_mul_f32_e32 v11, s14, v11
	s_wait_alu 0xfffe
	s_cbranch_vccz .LBB70_24
; %bb.23:                               ;   in Loop: Header=BB70_10 Depth=1
	s_delay_alu instid0(VALU_DEP_2)
	v_add_co_u32 v12, vcc_lo, s6, v9
	s_wait_alu 0xfffd
	v_add_co_ci_u32_e64 v13, null, s7, v10, vcc_lo
	global_store_b32 v[12:13], v11, off
	s_cbranch_execnz .LBB70_9
	s_branch .LBB70_25
.LBB70_24:                              ;   in Loop: Header=BB70_10 Depth=1
.LBB70_25:                              ;   in Loop: Header=BB70_10 Depth=1
	s_delay_alu instid0(VALU_DEP_2)
	v_add_co_u32 v9, vcc_lo, s6, v9
	s_wait_alu 0xfffd
	v_add_co_ci_u32_e64 v10, null, s7, v10, vcc_lo
	global_load_b32 v12, v[9:10], off
	s_wait_loadcnt 0x0
	v_fmac_f32_e32 v11, s16, v12
	global_store_b32 v[9:10], v11, off
	s_branch .LBB70_9
.LBB70_26:
	s_endpgm
	.section	.rodata,"a",@progbits
	.p2align	6, 0x0
	.amdhsa_kernel _ZN9rocsparseL22bsrxmvn_general_kernelILj256ELj16Efll18rocsparse_bfloat16S1_fEEv20rocsparse_direction_NS_24const_host_device_scalarIT1_EET3_PKS6_PKT2_SB_S8_PKT4_S6_PKT5_S5_PT6_21rocsparse_index_base_b
		.amdhsa_group_segment_fixed_size 0
		.amdhsa_private_segment_fixed_size 0
		.amdhsa_kernarg_size 104
		.amdhsa_user_sgpr_count 2
		.amdhsa_user_sgpr_dispatch_ptr 0
		.amdhsa_user_sgpr_queue_ptr 0
		.amdhsa_user_sgpr_kernarg_segment_ptr 1
		.amdhsa_user_sgpr_dispatch_id 0
		.amdhsa_user_sgpr_private_segment_size 0
		.amdhsa_wavefront_size32 1
		.amdhsa_uses_dynamic_stack 0
		.amdhsa_enable_private_segment 0
		.amdhsa_system_sgpr_workgroup_id_x 1
		.amdhsa_system_sgpr_workgroup_id_y 0
		.amdhsa_system_sgpr_workgroup_id_z 0
		.amdhsa_system_sgpr_workgroup_info 0
		.amdhsa_system_vgpr_workitem_id 0
		.amdhsa_next_free_vgpr 23
		.amdhsa_next_free_sgpr 36
		.amdhsa_reserve_vcc 1
		.amdhsa_float_round_mode_32 0
		.amdhsa_float_round_mode_16_64 0
		.amdhsa_float_denorm_mode_32 3
		.amdhsa_float_denorm_mode_16_64 3
		.amdhsa_fp16_overflow 0
		.amdhsa_workgroup_processor_mode 1
		.amdhsa_memory_ordered 1
		.amdhsa_forward_progress 1
		.amdhsa_inst_pref_size 10
		.amdhsa_round_robin_scheduling 0
		.amdhsa_exception_fp_ieee_invalid_op 0
		.amdhsa_exception_fp_denorm_src 0
		.amdhsa_exception_fp_ieee_div_zero 0
		.amdhsa_exception_fp_ieee_overflow 0
		.amdhsa_exception_fp_ieee_underflow 0
		.amdhsa_exception_fp_ieee_inexact 0
		.amdhsa_exception_int_div_zero 0
	.end_amdhsa_kernel
	.section	.text._ZN9rocsparseL22bsrxmvn_general_kernelILj256ELj16Efll18rocsparse_bfloat16S1_fEEv20rocsparse_direction_NS_24const_host_device_scalarIT1_EET3_PKS6_PKT2_SB_S8_PKT4_S6_PKT5_S5_PT6_21rocsparse_index_base_b,"axG",@progbits,_ZN9rocsparseL22bsrxmvn_general_kernelILj256ELj16Efll18rocsparse_bfloat16S1_fEEv20rocsparse_direction_NS_24const_host_device_scalarIT1_EET3_PKS6_PKT2_SB_S8_PKT4_S6_PKT5_S5_PT6_21rocsparse_index_base_b,comdat
.Lfunc_end70:
	.size	_ZN9rocsparseL22bsrxmvn_general_kernelILj256ELj16Efll18rocsparse_bfloat16S1_fEEv20rocsparse_direction_NS_24const_host_device_scalarIT1_EET3_PKS6_PKT2_SB_S8_PKT4_S6_PKT5_S5_PT6_21rocsparse_index_base_b, .Lfunc_end70-_ZN9rocsparseL22bsrxmvn_general_kernelILj256ELj16Efll18rocsparse_bfloat16S1_fEEv20rocsparse_direction_NS_24const_host_device_scalarIT1_EET3_PKS6_PKT2_SB_S8_PKT4_S6_PKT5_S5_PT6_21rocsparse_index_base_b
                                        ; -- End function
	.set _ZN9rocsparseL22bsrxmvn_general_kernelILj256ELj16Efll18rocsparse_bfloat16S1_fEEv20rocsparse_direction_NS_24const_host_device_scalarIT1_EET3_PKS6_PKT2_SB_S8_PKT4_S6_PKT5_S5_PT6_21rocsparse_index_base_b.num_vgpr, 23
	.set _ZN9rocsparseL22bsrxmvn_general_kernelILj256ELj16Efll18rocsparse_bfloat16S1_fEEv20rocsparse_direction_NS_24const_host_device_scalarIT1_EET3_PKS6_PKT2_SB_S8_PKT4_S6_PKT5_S5_PT6_21rocsparse_index_base_b.num_agpr, 0
	.set _ZN9rocsparseL22bsrxmvn_general_kernelILj256ELj16Efll18rocsparse_bfloat16S1_fEEv20rocsparse_direction_NS_24const_host_device_scalarIT1_EET3_PKS6_PKT2_SB_S8_PKT4_S6_PKT5_S5_PT6_21rocsparse_index_base_b.numbered_sgpr, 36
	.set _ZN9rocsparseL22bsrxmvn_general_kernelILj256ELj16Efll18rocsparse_bfloat16S1_fEEv20rocsparse_direction_NS_24const_host_device_scalarIT1_EET3_PKS6_PKT2_SB_S8_PKT4_S6_PKT5_S5_PT6_21rocsparse_index_base_b.num_named_barrier, 0
	.set _ZN9rocsparseL22bsrxmvn_general_kernelILj256ELj16Efll18rocsparse_bfloat16S1_fEEv20rocsparse_direction_NS_24const_host_device_scalarIT1_EET3_PKS6_PKT2_SB_S8_PKT4_S6_PKT5_S5_PT6_21rocsparse_index_base_b.private_seg_size, 0
	.set _ZN9rocsparseL22bsrxmvn_general_kernelILj256ELj16Efll18rocsparse_bfloat16S1_fEEv20rocsparse_direction_NS_24const_host_device_scalarIT1_EET3_PKS6_PKT2_SB_S8_PKT4_S6_PKT5_S5_PT6_21rocsparse_index_base_b.uses_vcc, 1
	.set _ZN9rocsparseL22bsrxmvn_general_kernelILj256ELj16Efll18rocsparse_bfloat16S1_fEEv20rocsparse_direction_NS_24const_host_device_scalarIT1_EET3_PKS6_PKT2_SB_S8_PKT4_S6_PKT5_S5_PT6_21rocsparse_index_base_b.uses_flat_scratch, 0
	.set _ZN9rocsparseL22bsrxmvn_general_kernelILj256ELj16Efll18rocsparse_bfloat16S1_fEEv20rocsparse_direction_NS_24const_host_device_scalarIT1_EET3_PKS6_PKT2_SB_S8_PKT4_S6_PKT5_S5_PT6_21rocsparse_index_base_b.has_dyn_sized_stack, 0
	.set _ZN9rocsparseL22bsrxmvn_general_kernelILj256ELj16Efll18rocsparse_bfloat16S1_fEEv20rocsparse_direction_NS_24const_host_device_scalarIT1_EET3_PKS6_PKT2_SB_S8_PKT4_S6_PKT5_S5_PT6_21rocsparse_index_base_b.has_recursion, 0
	.set _ZN9rocsparseL22bsrxmvn_general_kernelILj256ELj16Efll18rocsparse_bfloat16S1_fEEv20rocsparse_direction_NS_24const_host_device_scalarIT1_EET3_PKS6_PKT2_SB_S8_PKT4_S6_PKT5_S5_PT6_21rocsparse_index_base_b.has_indirect_call, 0
	.section	.AMDGPU.csdata,"",@progbits
; Kernel info:
; codeLenInByte = 1276
; TotalNumSgprs: 38
; NumVgprs: 23
; ScratchSize: 0
; MemoryBound: 0
; FloatMode: 240
; IeeeMode: 1
; LDSByteSize: 0 bytes/workgroup (compile time only)
; SGPRBlocks: 0
; VGPRBlocks: 2
; NumSGPRsForWavesPerEU: 38
; NumVGPRsForWavesPerEU: 23
; Occupancy: 16
; WaveLimiterHint : 0
; COMPUTE_PGM_RSRC2:SCRATCH_EN: 0
; COMPUTE_PGM_RSRC2:USER_SGPR: 2
; COMPUTE_PGM_RSRC2:TRAP_HANDLER: 0
; COMPUTE_PGM_RSRC2:TGID_X_EN: 1
; COMPUTE_PGM_RSRC2:TGID_Y_EN: 0
; COMPUTE_PGM_RSRC2:TGID_Z_EN: 0
; COMPUTE_PGM_RSRC2:TIDIG_COMP_CNT: 0
	.section	.text._ZN9rocsparseL22bsrxmvn_general_kernelILj1024ELj32Efll18rocsparse_bfloat16S1_fEEv20rocsparse_direction_NS_24const_host_device_scalarIT1_EET3_PKS6_PKT2_SB_S8_PKT4_S6_PKT5_S5_PT6_21rocsparse_index_base_b,"axG",@progbits,_ZN9rocsparseL22bsrxmvn_general_kernelILj1024ELj32Efll18rocsparse_bfloat16S1_fEEv20rocsparse_direction_NS_24const_host_device_scalarIT1_EET3_PKS6_PKT2_SB_S8_PKT4_S6_PKT5_S5_PT6_21rocsparse_index_base_b,comdat
	.globl	_ZN9rocsparseL22bsrxmvn_general_kernelILj1024ELj32Efll18rocsparse_bfloat16S1_fEEv20rocsparse_direction_NS_24const_host_device_scalarIT1_EET3_PKS6_PKT2_SB_S8_PKT4_S6_PKT5_S5_PT6_21rocsparse_index_base_b ; -- Begin function _ZN9rocsparseL22bsrxmvn_general_kernelILj1024ELj32Efll18rocsparse_bfloat16S1_fEEv20rocsparse_direction_NS_24const_host_device_scalarIT1_EET3_PKS6_PKT2_SB_S8_PKT4_S6_PKT5_S5_PT6_21rocsparse_index_base_b
	.p2align	8
	.type	_ZN9rocsparseL22bsrxmvn_general_kernelILj1024ELj32Efll18rocsparse_bfloat16S1_fEEv20rocsparse_direction_NS_24const_host_device_scalarIT1_EET3_PKS6_PKT2_SB_S8_PKT4_S6_PKT5_S5_PT6_21rocsparse_index_base_b,@function
_ZN9rocsparseL22bsrxmvn_general_kernelILj1024ELj32Efll18rocsparse_bfloat16S1_fEEv20rocsparse_direction_NS_24const_host_device_scalarIT1_EET3_PKS6_PKT2_SB_S8_PKT4_S6_PKT5_S5_PT6_21rocsparse_index_base_b: ; @_ZN9rocsparseL22bsrxmvn_general_kernelILj1024ELj32Efll18rocsparse_bfloat16S1_fEEv20rocsparse_direction_NS_24const_host_device_scalarIT1_EET3_PKS6_PKT2_SB_S8_PKT4_S6_PKT5_S5_PT6_21rocsparse_index_base_b
; %bb.0:
	s_clause 0x2
	s_load_b64 s[12:13], s[0:1], 0x60
	s_load_b64 s[14:15], s[0:1], 0x8
	s_load_b64 s[16:17], s[0:1], 0x50
	s_wait_kmcnt 0x0
	s_bitcmp1_b32 s13, 0
	s_cselect_b32 s2, -1, 0
	s_delay_alu instid0(SALU_CYCLE_1)
	s_and_b32 vcc_lo, exec_lo, s2
	s_xor_b32 s2, s2, -1
	s_cbranch_vccnz .LBB71_2
; %bb.1:
	s_load_b32 s14, s[14:15], 0x0
.LBB71_2:
	s_and_not1_b32 vcc_lo, exec_lo, s2
	s_cbranch_vccnz .LBB71_4
; %bb.3:
	s_load_b32 s16, s[16:17], 0x0
.LBB71_4:
	s_wait_kmcnt 0x0
	s_cmp_neq_f32 s14, 0
	s_mov_b32 s23, 0
	s_cselect_b32 s2, -1, 0
	s_cmp_neq_f32 s16, 1.0
	s_cselect_b32 s3, -1, 0
	s_delay_alu instid0(SALU_CYCLE_1) | instskip(NEXT) | instid1(SALU_CYCLE_1)
	s_or_b32 s2, s2, s3
	s_and_not1_b32 vcc_lo, exec_lo, s2
	s_cbranch_vccnz .LBB71_26
; %bb.5:
	s_load_b64 s[2:3], s[0:1], 0x18
	s_mov_b32 s22, ttmp9
	s_mov_b32 s13, s23
	s_wait_kmcnt 0x0
	s_cmp_eq_u64 s[2:3], 0
	s_cbranch_scc1 .LBB71_7
; %bb.6:
	s_lshl_b64 s[4:5], s[22:23], 3
	s_delay_alu instid0(SALU_CYCLE_1)
	s_add_nc_u64 s[2:3], s[2:3], s[4:5]
	s_load_b64 s[2:3], s[2:3], 0x0
	s_wait_kmcnt 0x0
	s_sub_nc_u64 s[22:23], s[2:3], s[12:13]
.LBB71_7:
	s_load_b64 s[18:19], s[0:1], 0x40
	v_lshrrev_b32_e32 v1, 5, v0
	v_mov_b32_e32 v2, 0
	s_mov_b32 s2, exec_lo
	s_wait_kmcnt 0x0
	s_delay_alu instid0(VALU_DEP_1)
	v_cmpx_gt_i64_e64 s[18:19], v[1:2]
	s_cbranch_execz .LBB71_26
; %bb.8:
	s_clause 0x2
	s_load_b256 s[4:11], s[0:1], 0x20
	s_load_b64 s[2:3], s[0:1], 0x48
	s_load_b64 s[20:21], s[0:1], 0x58
	v_dual_mov_b32 v4, v2 :: v_dual_and_b32 v3, 31, v0
	v_mbcnt_lo_u32_b32 v0, -1, 0
	s_lshl_b64 s[24:25], s[22:23], 3
	s_load_b32 s17, s[0:1], 0x0
	s_mul_u64 s[22:23], s[22:23], s[18:19]
	v_cmp_gt_u64_e64 s0, s[18:19], v[3:4]
	v_xor_b32_e32 v5, 16, v0
	v_xor_b32_e32 v6, 8, v0
	;; [unrolled: 1-line block ×5, first 2 shown]
	v_cmp_gt_i32_e32 vcc_lo, 32, v5
	v_lshlrev_b32_e32 v10, 1, v3
	v_cmp_eq_u32_e64 s1, 31, v3
	s_mov_b32 s15, 0
	v_cndmask_b32_e32 v5, v0, v5, vcc_lo
	s_wait_kmcnt 0x0
	s_add_nc_u64 s[4:5], s[4:5], s[24:25]
	v_cmp_gt_i32_e32 vcc_lo, 32, v6
	s_load_b64 s[26:27], s[4:5], 0x0
	s_add_nc_u64 s[24:25], s[6:7], s[24:25]
	s_cmp_eq_u64 s[6:7], 0
	s_add_nc_u64 s[4:5], s[4:5], 8
	v_cndmask_b32_e32 v6, v0, v6, vcc_lo
	v_cmp_gt_i32_e32 vcc_lo, 32, v7
	s_cselect_b32 s5, s5, s25
	s_cselect_b32 s4, s4, s24
	s_cmp_lg_u32 s17, 0
	s_load_b64 s[24:25], s[4:5], 0x0
	v_cndmask_b32_e32 v7, v0, v7, vcc_lo
	v_cmp_gt_i32_e32 vcc_lo, 32, v8
	s_cselect_b32 s17, -1, 0
	s_cmp_eq_f32 s16, 0
	s_wait_alu 0xfffd
	v_cndmask_b32_e32 v8, v0, v8, vcc_lo
	v_cmp_gt_i32_e32 vcc_lo, 32, v9
	s_cselect_b32 s33, -1, 0
	s_wait_kmcnt 0x0
	s_sub_nc_u64 s[4:5], s[26:27], s[12:13]
	v_lshlrev_b32_e32 v19, 2, v8
	s_wait_alu 0xfffd
	v_cndmask_b32_e32 v9, v0, v9, vcc_lo
	v_lshlrev_b32_e32 v0, 2, v5
	v_lshlrev_b32_e32 v17, 2, v6
	v_mad_co_u64_u32 v[5:6], null, s18, s4, v[1:2]
	s_mul_i32 s6, s19, s4
	s_mul_i32 s7, s18, s5
	v_lshlrev_b32_e32 v18, 2, v7
	v_lshlrev_b32_e32 v20, 2, v9
	v_add3_u32 v7, s7, s6, v6
	v_mul_lo_u32 v9, s19, v5
	v_mad_co_u64_u32 v[5:6], null, s18, v5, 0
	s_lshl_b64 s[6:7], s[22:23], 2
	v_mul_lo_u32 v11, s18, v7
	v_add_co_u32 v7, s2, s2, v10
	s_wait_alu 0xf1ff
	v_add_co_ci_u32_e64 v8, null, s3, 0, s2
	v_cmp_lt_i64_e64 s3, s[26:27], s[24:25]
	s_wait_alu 0xfffe
	s_add_nc_u64 s[6:7], s[20:21], s[6:7]
	s_sub_nc_u64 s[20:21], s[24:25], s[12:13]
	v_add3_u32 v6, v6, v11, v9
	s_lshl_b64 s[22:23], s[18:19], 1
	s_lshl_b64 s[24:25], s[18:19], 5
	s_mul_u64 s[26:27], s[18:19], s[18:19]
	s_branch .LBB71_10
.LBB71_9:                               ;   in Loop: Header=BB71_10 Depth=1
	s_wait_alu 0xfffe
	s_or_b32 exec_lo, exec_lo, s2
	v_add_co_u32 v1, vcc_lo, v1, 32
	s_wait_alu 0xfffd
	v_add_co_ci_u32_e64 v2, null, 0, v2, vcc_lo
	v_add_co_u32 v5, s2, v5, s24
	s_wait_alu 0xf1ff
	v_add_co_ci_u32_e64 v6, null, s25, v6, s2
	s_delay_alu instid0(VALU_DEP_3)
	v_cmp_le_i64_e32 vcc_lo, s[18:19], v[1:2]
	s_or_b32 s15, vcc_lo, s15
	s_wait_alu 0xfffe
	s_and_not1_b32 exec_lo, exec_lo, s15
	s_cbranch_execz .LBB71_26
.LBB71_10:                              ; =>This Loop Header: Depth=1
                                        ;     Child Loop BB71_14 Depth 2
                                        ;       Child Loop BB71_17 Depth 3
	v_mov_b32_e32 v21, 0
	s_and_not1_b32 vcc_lo, exec_lo, s3
	s_wait_alu 0xfffe
	s_cbranch_vccnz .LBB71_21
; %bb.11:                               ;   in Loop: Header=BB71_10 Depth=1
	s_wait_dscnt 0x0
	v_dual_mov_b32 v21, 0 :: v_dual_mov_b32 v10, v6
	v_mov_b32_e32 v9, v5
	s_mov_b64 s[28:29], s[4:5]
	s_branch .LBB71_14
.LBB71_12:                              ;   in Loop: Header=BB71_14 Depth=2
	s_or_b32 exec_lo, exec_lo, s35
.LBB71_13:                              ;   in Loop: Header=BB71_14 Depth=2
	s_delay_alu instid0(SALU_CYCLE_1)
	s_or_b32 exec_lo, exec_lo, s34
	s_wait_alu 0xfffe
	s_add_nc_u64 s[28:29], s[28:29], 1
	v_add_co_u32 v9, vcc_lo, v9, s26
	s_wait_alu 0xfffe
	v_cmp_ge_i64_e64 s2, s[28:29], s[20:21]
	s_wait_alu 0xfffd
	v_add_co_ci_u32_e64 v10, null, s27, v10, vcc_lo
	s_and_b32 vcc_lo, exec_lo, s2
	s_wait_alu 0xfffe
	s_cbranch_vccnz .LBB71_21
.LBB71_14:                              ;   Parent Loop BB71_10 Depth=1
                                        ; =>  This Loop Header: Depth=2
                                        ;       Child Loop BB71_17 Depth 3
	s_and_saveexec_b32 s34, s0
	s_cbranch_execz .LBB71_13
; %bb.15:                               ;   in Loop: Header=BB71_14 Depth=2
	s_wait_alu 0xfffe
	s_lshl_b64 s[30:31], s[28:29], 3
	v_dual_mov_b32 v14, v4 :: v_dual_mov_b32 v13, v3
	s_wait_alu 0xfffe
	s_add_nc_u64 s[30:31], s[8:9], s[30:31]
	s_mov_b32 s35, 0
	s_load_b64 s[30:31], s[30:31], 0x0
	s_wait_kmcnt 0x0
	s_sub_nc_u64 s[30:31], s[30:31], s[12:13]
	s_wait_alu 0xfffe
	v_mad_co_u64_u32 v[11:12], null, s22, s30, v[7:8]
	s_mul_i32 s2, s23, s30
	s_mul_i32 s30, s22, s31
	s_wait_alu 0xfffe
	v_add3_u32 v12, s30, s2, v12
	s_mul_u64 s[30:31], s[28:29], s[18:19]
	s_branch .LBB71_17
.LBB71_16:                              ;   in Loop: Header=BB71_17 Depth=3
	s_delay_alu instid0(VALU_DEP_1) | instskip(NEXT) | instid1(VALU_DEP_1)
	v_lshlrev_b64_e32 v[15:16], 1, v[15:16]
	v_add_co_u32 v15, vcc_lo, s10, v15
	s_wait_alu 0xfffd
	s_delay_alu instid0(VALU_DEP_2)
	v_add_co_ci_u32_e64 v16, null, s11, v16, vcc_lo
	v_add_co_u32 v13, vcc_lo, v13, 32
	global_load_u16 v22, v[11:12], off
	global_load_u16 v15, v[15:16], off
	s_wait_alu 0xfffd
	v_add_co_ci_u32_e64 v14, null, 0, v14, vcc_lo
	v_add_co_u32 v11, s2, v11, 64
	s_wait_alu 0xf1ff
	v_add_co_ci_u32_e64 v12, null, 0, v12, s2
	s_delay_alu instid0(VALU_DEP_3)
	v_cmp_le_i64_e32 vcc_lo, s[18:19], v[13:14]
	s_or_b32 s35, vcc_lo, s35
	s_wait_loadcnt 0x1
	v_lshlrev_b32_e32 v16, 16, v22
	s_wait_loadcnt 0x0
	v_lshlrev_b32_e32 v15, 16, v15
	s_delay_alu instid0(VALU_DEP_1)
	v_fmac_f32_e32 v21, v15, v16
	s_and_not1_b32 exec_lo, exec_lo, s35
	s_cbranch_execz .LBB71_12
.LBB71_17:                              ;   Parent Loop BB71_10 Depth=1
                                        ;     Parent Loop BB71_14 Depth=2
                                        ; =>    This Inner Loop Header: Depth=3
	s_and_b32 vcc_lo, exec_lo, s17
	s_wait_alu 0xfffe
	s_cbranch_vccz .LBB71_19
; %bb.18:                               ;   in Loop: Header=BB71_17 Depth=3
	v_add_co_u32 v15, vcc_lo, v13, s30
	s_wait_alu 0xfffd
	v_add_co_ci_u32_e64 v16, null, s31, v14, vcc_lo
	s_delay_alu instid0(VALU_DEP_2) | instskip(NEXT) | instid1(VALU_DEP_2)
	v_mul_lo_u32 v22, v15, s19
	v_mul_lo_u32 v23, v16, s18
	v_mad_co_u64_u32 v[15:16], null, v15, s18, v[1:2]
	s_delay_alu instid0(VALU_DEP_1)
	v_add3_u32 v16, v23, v16, v22
	s_cbranch_execnz .LBB71_16
	s_branch .LBB71_20
.LBB71_19:                              ;   in Loop: Header=BB71_17 Depth=3
                                        ; implicit-def: $vgpr15_vgpr16
.LBB71_20:                              ;   in Loop: Header=BB71_17 Depth=3
	v_add_co_u32 v15, vcc_lo, v9, v13
	s_wait_alu 0xfffd
	v_add_co_ci_u32_e64 v16, null, v10, v14, vcc_lo
	s_branch .LBB71_16
.LBB71_21:                              ;   in Loop: Header=BB71_10 Depth=1
	ds_bpermute_b32 v9, v0, v21
	s_wait_dscnt 0x0
	v_add_f32_e32 v9, v21, v9
	ds_bpermute_b32 v10, v17, v9
	s_wait_dscnt 0x0
	v_add_f32_e32 v9, v9, v10
	;; [unrolled: 3-line block ×4, first 2 shown]
	ds_bpermute_b32 v10, v20, v9
	s_and_saveexec_b32 s2, s1
	s_cbranch_execz .LBB71_9
; %bb.22:                               ;   in Loop: Header=BB71_10 Depth=1
	s_wait_dscnt 0x0
	v_add_f32_e32 v11, v9, v10
	v_lshlrev_b64_e32 v[9:10], 2, v[1:2]
	s_and_b32 vcc_lo, exec_lo, s33
	s_delay_alu instid0(VALU_DEP_2)
	v_mul_f32_e32 v11, s14, v11
	s_wait_alu 0xfffe
	s_cbranch_vccz .LBB71_24
; %bb.23:                               ;   in Loop: Header=BB71_10 Depth=1
	s_delay_alu instid0(VALU_DEP_2)
	v_add_co_u32 v12, vcc_lo, s6, v9
	s_wait_alu 0xfffd
	v_add_co_ci_u32_e64 v13, null, s7, v10, vcc_lo
	global_store_b32 v[12:13], v11, off
	s_cbranch_execnz .LBB71_9
	s_branch .LBB71_25
.LBB71_24:                              ;   in Loop: Header=BB71_10 Depth=1
.LBB71_25:                              ;   in Loop: Header=BB71_10 Depth=1
	s_delay_alu instid0(VALU_DEP_2)
	v_add_co_u32 v9, vcc_lo, s6, v9
	s_wait_alu 0xfffd
	v_add_co_ci_u32_e64 v10, null, s7, v10, vcc_lo
	global_load_b32 v12, v[9:10], off
	s_wait_loadcnt 0x0
	v_fmac_f32_e32 v11, s16, v12
	global_store_b32 v[9:10], v11, off
	s_branch .LBB71_9
.LBB71_26:
	s_endpgm
	.section	.rodata,"a",@progbits
	.p2align	6, 0x0
	.amdhsa_kernel _ZN9rocsparseL22bsrxmvn_general_kernelILj1024ELj32Efll18rocsparse_bfloat16S1_fEEv20rocsparse_direction_NS_24const_host_device_scalarIT1_EET3_PKS6_PKT2_SB_S8_PKT4_S6_PKT5_S5_PT6_21rocsparse_index_base_b
		.amdhsa_group_segment_fixed_size 0
		.amdhsa_private_segment_fixed_size 0
		.amdhsa_kernarg_size 104
		.amdhsa_user_sgpr_count 2
		.amdhsa_user_sgpr_dispatch_ptr 0
		.amdhsa_user_sgpr_queue_ptr 0
		.amdhsa_user_sgpr_kernarg_segment_ptr 1
		.amdhsa_user_sgpr_dispatch_id 0
		.amdhsa_user_sgpr_private_segment_size 0
		.amdhsa_wavefront_size32 1
		.amdhsa_uses_dynamic_stack 0
		.amdhsa_enable_private_segment 0
		.amdhsa_system_sgpr_workgroup_id_x 1
		.amdhsa_system_sgpr_workgroup_id_y 0
		.amdhsa_system_sgpr_workgroup_id_z 0
		.amdhsa_system_sgpr_workgroup_info 0
		.amdhsa_system_vgpr_workitem_id 0
		.amdhsa_next_free_vgpr 24
		.amdhsa_next_free_sgpr 36
		.amdhsa_reserve_vcc 1
		.amdhsa_float_round_mode_32 0
		.amdhsa_float_round_mode_16_64 0
		.amdhsa_float_denorm_mode_32 3
		.amdhsa_float_denorm_mode_16_64 3
		.amdhsa_fp16_overflow 0
		.amdhsa_workgroup_processor_mode 1
		.amdhsa_memory_ordered 1
		.amdhsa_forward_progress 1
		.amdhsa_inst_pref_size 11
		.amdhsa_round_robin_scheduling 0
		.amdhsa_exception_fp_ieee_invalid_op 0
		.amdhsa_exception_fp_denorm_src 0
		.amdhsa_exception_fp_ieee_div_zero 0
		.amdhsa_exception_fp_ieee_overflow 0
		.amdhsa_exception_fp_ieee_underflow 0
		.amdhsa_exception_fp_ieee_inexact 0
		.amdhsa_exception_int_div_zero 0
	.end_amdhsa_kernel
	.section	.text._ZN9rocsparseL22bsrxmvn_general_kernelILj1024ELj32Efll18rocsparse_bfloat16S1_fEEv20rocsparse_direction_NS_24const_host_device_scalarIT1_EET3_PKS6_PKT2_SB_S8_PKT4_S6_PKT5_S5_PT6_21rocsparse_index_base_b,"axG",@progbits,_ZN9rocsparseL22bsrxmvn_general_kernelILj1024ELj32Efll18rocsparse_bfloat16S1_fEEv20rocsparse_direction_NS_24const_host_device_scalarIT1_EET3_PKS6_PKT2_SB_S8_PKT4_S6_PKT5_S5_PT6_21rocsparse_index_base_b,comdat
.Lfunc_end71:
	.size	_ZN9rocsparseL22bsrxmvn_general_kernelILj1024ELj32Efll18rocsparse_bfloat16S1_fEEv20rocsparse_direction_NS_24const_host_device_scalarIT1_EET3_PKS6_PKT2_SB_S8_PKT4_S6_PKT5_S5_PT6_21rocsparse_index_base_b, .Lfunc_end71-_ZN9rocsparseL22bsrxmvn_general_kernelILj1024ELj32Efll18rocsparse_bfloat16S1_fEEv20rocsparse_direction_NS_24const_host_device_scalarIT1_EET3_PKS6_PKT2_SB_S8_PKT4_S6_PKT5_S5_PT6_21rocsparse_index_base_b
                                        ; -- End function
	.set _ZN9rocsparseL22bsrxmvn_general_kernelILj1024ELj32Efll18rocsparse_bfloat16S1_fEEv20rocsparse_direction_NS_24const_host_device_scalarIT1_EET3_PKS6_PKT2_SB_S8_PKT4_S6_PKT5_S5_PT6_21rocsparse_index_base_b.num_vgpr, 24
	.set _ZN9rocsparseL22bsrxmvn_general_kernelILj1024ELj32Efll18rocsparse_bfloat16S1_fEEv20rocsparse_direction_NS_24const_host_device_scalarIT1_EET3_PKS6_PKT2_SB_S8_PKT4_S6_PKT5_S5_PT6_21rocsparse_index_base_b.num_agpr, 0
	.set _ZN9rocsparseL22bsrxmvn_general_kernelILj1024ELj32Efll18rocsparse_bfloat16S1_fEEv20rocsparse_direction_NS_24const_host_device_scalarIT1_EET3_PKS6_PKT2_SB_S8_PKT4_S6_PKT5_S5_PT6_21rocsparse_index_base_b.numbered_sgpr, 36
	.set _ZN9rocsparseL22bsrxmvn_general_kernelILj1024ELj32Efll18rocsparse_bfloat16S1_fEEv20rocsparse_direction_NS_24const_host_device_scalarIT1_EET3_PKS6_PKT2_SB_S8_PKT4_S6_PKT5_S5_PT6_21rocsparse_index_base_b.num_named_barrier, 0
	.set _ZN9rocsparseL22bsrxmvn_general_kernelILj1024ELj32Efll18rocsparse_bfloat16S1_fEEv20rocsparse_direction_NS_24const_host_device_scalarIT1_EET3_PKS6_PKT2_SB_S8_PKT4_S6_PKT5_S5_PT6_21rocsparse_index_base_b.private_seg_size, 0
	.set _ZN9rocsparseL22bsrxmvn_general_kernelILj1024ELj32Efll18rocsparse_bfloat16S1_fEEv20rocsparse_direction_NS_24const_host_device_scalarIT1_EET3_PKS6_PKT2_SB_S8_PKT4_S6_PKT5_S5_PT6_21rocsparse_index_base_b.uses_vcc, 1
	.set _ZN9rocsparseL22bsrxmvn_general_kernelILj1024ELj32Efll18rocsparse_bfloat16S1_fEEv20rocsparse_direction_NS_24const_host_device_scalarIT1_EET3_PKS6_PKT2_SB_S8_PKT4_S6_PKT5_S5_PT6_21rocsparse_index_base_b.uses_flat_scratch, 0
	.set _ZN9rocsparseL22bsrxmvn_general_kernelILj1024ELj32Efll18rocsparse_bfloat16S1_fEEv20rocsparse_direction_NS_24const_host_device_scalarIT1_EET3_PKS6_PKT2_SB_S8_PKT4_S6_PKT5_S5_PT6_21rocsparse_index_base_b.has_dyn_sized_stack, 0
	.set _ZN9rocsparseL22bsrxmvn_general_kernelILj1024ELj32Efll18rocsparse_bfloat16S1_fEEv20rocsparse_direction_NS_24const_host_device_scalarIT1_EET3_PKS6_PKT2_SB_S8_PKT4_S6_PKT5_S5_PT6_21rocsparse_index_base_b.has_recursion, 0
	.set _ZN9rocsparseL22bsrxmvn_general_kernelILj1024ELj32Efll18rocsparse_bfloat16S1_fEEv20rocsparse_direction_NS_24const_host_device_scalarIT1_EET3_PKS6_PKT2_SB_S8_PKT4_S6_PKT5_S5_PT6_21rocsparse_index_base_b.has_indirect_call, 0
	.section	.AMDGPU.csdata,"",@progbits
; Kernel info:
; codeLenInByte = 1304
; TotalNumSgprs: 38
; NumVgprs: 24
; ScratchSize: 0
; MemoryBound: 0
; FloatMode: 240
; IeeeMode: 1
; LDSByteSize: 0 bytes/workgroup (compile time only)
; SGPRBlocks: 0
; VGPRBlocks: 2
; NumSGPRsForWavesPerEU: 38
; NumVGPRsForWavesPerEU: 24
; Occupancy: 16
; WaveLimiterHint : 0
; COMPUTE_PGM_RSRC2:SCRATCH_EN: 0
; COMPUTE_PGM_RSRC2:USER_SGPR: 2
; COMPUTE_PGM_RSRC2:TRAP_HANDLER: 0
; COMPUTE_PGM_RSRC2:TGID_X_EN: 1
; COMPUTE_PGM_RSRC2:TGID_Y_EN: 0
; COMPUTE_PGM_RSRC2:TGID_Z_EN: 0
; COMPUTE_PGM_RSRC2:TIDIG_COMP_CNT: 0
	.section	.text._ZN9rocsparseL22bsrxmvn_general_kernelILj64ELj8E21rocsparse_complex_numIfEiifS2_S2_EEv20rocsparse_direction_NS_24const_host_device_scalarIT1_EET3_PKS7_PKT2_SC_S9_PKT4_S7_PKT5_S6_PT6_21rocsparse_index_base_b,"axG",@progbits,_ZN9rocsparseL22bsrxmvn_general_kernelILj64ELj8E21rocsparse_complex_numIfEiifS2_S2_EEv20rocsparse_direction_NS_24const_host_device_scalarIT1_EET3_PKS7_PKT2_SC_S9_PKT4_S7_PKT5_S6_PT6_21rocsparse_index_base_b,comdat
	.globl	_ZN9rocsparseL22bsrxmvn_general_kernelILj64ELj8E21rocsparse_complex_numIfEiifS2_S2_EEv20rocsparse_direction_NS_24const_host_device_scalarIT1_EET3_PKS7_PKT2_SC_S9_PKT4_S7_PKT5_S6_PT6_21rocsparse_index_base_b ; -- Begin function _ZN9rocsparseL22bsrxmvn_general_kernelILj64ELj8E21rocsparse_complex_numIfEiifS2_S2_EEv20rocsparse_direction_NS_24const_host_device_scalarIT1_EET3_PKS7_PKT2_SC_S9_PKT4_S7_PKT5_S6_PT6_21rocsparse_index_base_b
	.p2align	8
	.type	_ZN9rocsparseL22bsrxmvn_general_kernelILj64ELj8E21rocsparse_complex_numIfEiifS2_S2_EEv20rocsparse_direction_NS_24const_host_device_scalarIT1_EET3_PKS7_PKT2_SC_S9_PKT4_S7_PKT5_S6_PT6_21rocsparse_index_base_b,@function
_ZN9rocsparseL22bsrxmvn_general_kernelILj64ELj8E21rocsparse_complex_numIfEiifS2_S2_EEv20rocsparse_direction_NS_24const_host_device_scalarIT1_EET3_PKS7_PKT2_SC_S9_PKT4_S7_PKT5_S6_PT6_21rocsparse_index_base_b: ; @_ZN9rocsparseL22bsrxmvn_general_kernelILj64ELj8E21rocsparse_complex_numIfEiifS2_S2_EEv20rocsparse_direction_NS_24const_host_device_scalarIT1_EET3_PKS7_PKT2_SC_S9_PKT4_S7_PKT5_S6_PT6_21rocsparse_index_base_b
; %bb.0:
	s_clause 0x2
	s_load_b64 s[12:13], s[0:1], 0x60
	s_load_b64 s[2:3], s[0:1], 0x8
	;; [unrolled: 1-line block ×3, first 2 shown]
	s_add_nc_u64 s[6:7], s[0:1], 8
	s_wait_kmcnt 0x0
	s_bitcmp1_b32 s13, 0
	s_cselect_b32 s2, s6, s2
	s_cselect_b32 s3, s7, s3
	s_delay_alu instid0(SALU_CYCLE_1)
	v_dual_mov_b32 v1, s2 :: v_dual_mov_b32 v2, s3
	s_add_nc_u64 s[2:3], s[0:1], 0x50
	s_wait_alu 0xfffe
	s_cselect_b32 s2, s2, s4
	s_cselect_b32 s3, s3, s5
	flat_load_b64 v[1:2], v[1:2]
	s_wait_alu 0xfffe
	v_dual_mov_b32 v3, s2 :: v_dual_mov_b32 v4, s3
	flat_load_b64 v[3:4], v[3:4]
	s_wait_loadcnt_dscnt 0x101
	v_cmp_eq_f32_e32 vcc_lo, 0, v1
	v_cmp_eq_f32_e64 s2, 0, v2
	s_and_b32 s4, vcc_lo, s2
	s_mov_b32 s2, -1
	s_and_saveexec_b32 s3, s4
	s_cbranch_execz .LBB72_2
; %bb.1:
	s_wait_loadcnt_dscnt 0x0
	v_cmp_neq_f32_e32 vcc_lo, 1.0, v3
	v_cmp_neq_f32_e64 s2, 0, v4
	s_wait_alu 0xfffe
	s_or_b32 s2, vcc_lo, s2
	s_wait_alu 0xfffe
	s_or_not1_b32 s2, s2, exec_lo
.LBB72_2:
	s_wait_alu 0xfffe
	s_or_b32 exec_lo, exec_lo, s3
	s_and_saveexec_b32 s3, s2
	s_cbranch_execz .LBB72_25
; %bb.3:
	s_load_b64 s[2:3], s[0:1], 0x18
	s_wait_kmcnt 0x0
	s_cmp_eq_u64 s[2:3], 0
	s_cbranch_scc1 .LBB72_5
; %bb.4:
	s_mov_b32 s4, ttmp9
	s_ashr_i32 s5, ttmp9, 31
	s_delay_alu instid0(SALU_CYCLE_1) | instskip(NEXT) | instid1(SALU_CYCLE_1)
	s_lshl_b64 s[4:5], s[4:5], 2
	s_add_nc_u64 s[2:3], s[2:3], s[4:5]
	s_load_b32 s2, s[2:3], 0x0
	s_wait_kmcnt 0x0
	s_sub_co_i32 s20, s2, s12
	s_branch .LBB72_6
.LBB72_5:
	s_mov_b32 s20, ttmp9
.LBB72_6:
	s_load_b32 s14, s[0:1], 0x40
	v_lshrrev_b32_e32 v5, 3, v0
	s_wait_kmcnt 0x0
	s_delay_alu instid0(VALU_DEP_1)
	v_cmp_gt_i32_e32 vcc_lo, s14, v5
	s_and_b32 exec_lo, exec_lo, vcc_lo
	s_cbranch_execz .LBB72_25
; %bb.7:
	s_load_b256 s[4:11], s[0:1], 0x20
	s_ashr_i32 s21, s20, 31
	v_mbcnt_lo_u32_b32 v9, -1, 0
	s_lshl_b64 s[2:3], s[20:21], 2
	s_load_b32 s24, s[0:1], 0x0
	v_dual_mov_b32 v6, 0 :: v_dual_and_b32 v7, 7, v0
	s_delay_alu instid0(VALU_DEP_2)
	v_xor_b32_e32 v10, 4, v9
	v_xor_b32_e32 v11, 2, v9
	;; [unrolled: 1-line block ×3, first 2 shown]
	v_mul_lo_u32 v0, s14, v5
	v_mul_lo_u32 v15, s14, v7
	s_wait_loadcnt_dscnt 0x0
	v_cmp_eq_f32_e32 vcc_lo, 0, v3
	s_mov_b32 s15, 0
	s_mul_i32 s13, s20, s14
	s_wait_kmcnt 0x0
	s_add_nc_u64 s[18:19], s[4:5], s[2:3]
	s_load_b32 s21, s[18:19], 0x0
	s_clause 0x1
	s_load_b64 s[4:5], s[0:1], 0x58
	s_load_b64 s[16:17], s[0:1], 0x48
	s_add_nc_u64 s[0:1], s[6:7], s[2:3]
	s_add_nc_u64 s[2:3], s[18:19], 4
	s_wait_kmcnt 0x0
	s_sub_co_i32 s18, s21, s12
	s_cmp_eq_u64 s[6:7], 0
	s_mul_u64 s[6:7], s[14:15], s[14:15]
	s_wait_alu 0xfffe
	s_cselect_b32 s1, s3, s1
	s_cselect_b32 s0, s2, s0
	v_cmp_gt_i32_e64 s3, 32, v10
	s_load_b32 s19, s[0:1], 0x0
	v_cmp_eq_f32_e64 s2, 0, v4
	v_cmp_gt_u32_e64 s0, s14, v7
	v_cmp_eq_u32_e64 s1, 7, v7
	v_cndmask_b32_e64 v10, v9, v10, s3
	v_cmp_gt_i32_e64 s3, 32, v11
	s_delay_alu instid0(VALU_DEP_2) | instskip(SKIP_1) | instid1(VALU_DEP_2)
	v_lshlrev_b32_e32 v16, 2, v10
	s_wait_alu 0xf1ff
	v_cndmask_b32_e64 v11, v9, v11, s3
	v_cmp_gt_i32_e64 s3, 32, v12
	s_delay_alu instid0(VALU_DEP_2) | instskip(SKIP_1) | instid1(VALU_DEP_2)
	v_dual_mov_b32 v8, v6 :: v_dual_lshlrev_b32 v17, 2, v11
	s_wait_alu 0xf1ff
	v_cndmask_b32_e64 v9, v9, v12, s3
	s_wait_kmcnt 0x0
	s_sub_co_i32 s22, s19, s12
	s_cmp_lt_i32 s21, s19
	s_delay_alu instid0(VALU_DEP_1)
	v_lshlrev_b32_e32 v18, 2, v9
	s_cselect_b32 s23, -1, 0
	s_cmp_lg_u32 s24, 0
	s_cselect_b32 s24, -1, 0
	s_ashr_i32 s19, s18, 31
	s_and_b32 s25, vcc_lo, s2
	s_mul_u64 s[2:3], s[18:19], s[6:7]
	s_lshl_b32 s19, s14, 3
	s_branch .LBB72_9
.LBB72_8:                               ;   in Loop: Header=BB72_9 Depth=1
	s_wait_alu 0xfffe
	s_or_b32 exec_lo, exec_lo, s20
	v_add_nc_u32_e32 v5, 8, v5
	v_add_nc_u32_e32 v0, s19, v0
	s_delay_alu instid0(VALU_DEP_2)
	v_cmp_le_i32_e32 vcc_lo, s14, v5
	s_or_b32 s15, vcc_lo, s15
	s_wait_alu 0xfffe
	s_and_not1_b32 exec_lo, exec_lo, s15
	s_cbranch_execz .LBB72_25
.LBB72_9:                               ; =>This Loop Header: Depth=1
                                        ;     Child Loop BB72_13 Depth 2
                                        ;       Child Loop BB72_16 Depth 3
	v_dual_mov_b32 v19, 0 :: v_dual_mov_b32 v20, 0
	s_and_not1_b32 vcc_lo, exec_lo, s23
	s_wait_alu 0xfffe
	s_cbranch_vccnz .LBB72_20
; %bb.10:                               ;   in Loop: Header=BB72_9 Depth=1
	v_ashrrev_i32_e32 v9, 31, v0
	v_add_co_u32 v21, vcc_lo, s2, v0
	v_dual_mov_b32 v19, 0 :: v_dual_mov_b32 v20, 0
	s_wait_alu 0xfffd
	s_delay_alu instid0(VALU_DEP_3)
	v_add_co_ci_u32_e64 v22, null, s3, v9, vcc_lo
	s_mov_b32 s20, s18
	s_branch .LBB72_13
.LBB72_11:                              ;   in Loop: Header=BB72_13 Depth=2
	s_or_b32 exec_lo, exec_lo, s21
.LBB72_12:                              ;   in Loop: Header=BB72_13 Depth=2
	s_wait_alu 0xfffe
	s_or_b32 exec_lo, exec_lo, s26
	v_add_co_u32 v21, vcc_lo, v21, s6
	s_wait_alu 0xfffd
	v_add_co_ci_u32_e64 v22, null, s7, v22, vcc_lo
	s_add_co_i32 s20, s20, 1
	s_wait_alu 0xfffe
	s_cmp_ge_i32 s20, s22
	s_cbranch_scc1 .LBB72_20
.LBB72_13:                              ;   Parent Loop BB72_9 Depth=1
                                        ; =>  This Loop Header: Depth=2
                                        ;       Child Loop BB72_16 Depth 3
	s_and_saveexec_b32 s26, s0
	s_cbranch_execz .LBB72_12
; %bb.14:                               ;   in Loop: Header=BB72_13 Depth=2
	s_wait_alu 0xfffe
	s_ashr_i32 s21, s20, 31
	s_wait_dscnt 0x1
	v_mad_co_u64_u32 v[9:10], null, s6, s20, v[5:6]
	s_wait_alu 0xfffe
	s_lshl_b64 s[28:29], s[20:21], 2
	s_mul_i32 s21, s6, s21
	s_wait_alu 0xfffe
	s_add_nc_u64 s[28:29], s[8:9], s[28:29]
	s_wait_dscnt 0x0
	v_dual_mov_b32 v23, v15 :: v_dual_mov_b32 v12, v8
	s_load_b32 s27, s[28:29], 0x0
	s_mul_i32 s28, s7, s20
	v_mov_b32_e32 v11, v7
	s_wait_alu 0xfffe
	v_add3_u32 v10, s21, s28, v10
	s_wait_kmcnt 0x0
	s_sub_co_i32 s21, s27, s12
	s_wait_alu 0xfffe
	s_mul_i32 s27, s21, s14
	s_mov_b32 s21, 0
	s_branch .LBB72_16
.LBB72_15:                              ;   in Loop: Header=BB72_16 Depth=3
	v_add_nc_u32_e32 v24, s27, v11
	s_delay_alu instid0(VALU_DEP_2) | instskip(SKIP_1) | instid1(VALU_DEP_3)
	v_lshlrev_b64_e32 v[13:14], 2, v[13:14]
	v_add_nc_u32_e32 v23, s19, v23
	v_ashrrev_i32_e32 v25, 31, v24
	s_delay_alu instid0(VALU_DEP_3) | instskip(SKIP_1) | instid1(VALU_DEP_4)
	v_add_co_u32 v13, vcc_lo, s10, v13
	s_wait_alu 0xfffd
	v_add_co_ci_u32_e64 v14, null, s11, v14, vcc_lo
	s_delay_alu instid0(VALU_DEP_3) | instskip(NEXT) | instid1(VALU_DEP_1)
	v_lshlrev_b64_e32 v[24:25], 3, v[24:25]
	v_add_co_u32 v24, vcc_lo, s16, v24
	s_wait_alu 0xfffd
	s_delay_alu instid0(VALU_DEP_2)
	v_add_co_ci_u32_e64 v25, null, s17, v25, vcc_lo
	global_load_b32 v26, v[13:14], off
	global_load_b64 v[13:14], v[24:25], off
	v_add_co_u32 v11, vcc_lo, v11, 8
	s_wait_alu 0xfffd
	v_add_co_ci_u32_e64 v12, null, 0, v12, vcc_lo
	s_delay_alu instid0(VALU_DEP_2) | instskip(SKIP_3) | instid1(VALU_DEP_1)
	v_cmp_le_i32_e32 vcc_lo, s14, v11
	s_or_b32 s21, vcc_lo, s21
	s_wait_loadcnt 0x0
	v_fmac_f32_e32 v20, v26, v13
	v_dual_fmac_f32 v19, 0, v13 :: v_dual_fmac_f32 v20, 0x80000000, v14
	s_delay_alu instid0(VALU_DEP_1)
	v_fmac_f32_e32 v19, v26, v14
	s_wait_alu 0xfffe
	s_and_not1_b32 exec_lo, exec_lo, s21
	s_cbranch_execz .LBB72_11
.LBB72_16:                              ;   Parent Loop BB72_9 Depth=1
                                        ;     Parent Loop BB72_13 Depth=2
                                        ; =>    This Inner Loop Header: Depth=3
	s_and_b32 vcc_lo, exec_lo, s24
	s_wait_alu 0xfffe
	s_cbranch_vccz .LBB72_18
; %bb.17:                               ;   in Loop: Header=BB72_16 Depth=3
	v_ashrrev_i32_e32 v14, 31, v23
	v_add_co_u32 v13, vcc_lo, v9, v23
	s_wait_alu 0xfffd
	s_delay_alu instid0(VALU_DEP_2)
	v_add_co_ci_u32_e64 v14, null, v10, v14, vcc_lo
	s_cbranch_execnz .LBB72_15
	s_branch .LBB72_19
.LBB72_18:                              ;   in Loop: Header=BB72_16 Depth=3
                                        ; implicit-def: $vgpr13_vgpr14
.LBB72_19:                              ;   in Loop: Header=BB72_16 Depth=3
	v_add_co_u32 v13, vcc_lo, v21, v11
	s_wait_alu 0xfffd
	v_add_co_ci_u32_e64 v14, null, v22, v12, vcc_lo
	s_branch .LBB72_15
.LBB72_20:                              ;   in Loop: Header=BB72_9 Depth=1
	ds_bpermute_b32 v9, v16, v20
	s_wait_dscnt 0x2
	ds_bpermute_b32 v10, v16, v19
	s_wait_dscnt 0x0
	v_dual_add_f32 v9, v20, v9 :: v_dual_add_f32 v10, v19, v10
	ds_bpermute_b32 v11, v17, v9
	ds_bpermute_b32 v12, v17, v10
	s_wait_dscnt 0x1
	v_add_f32_e32 v9, v9, v11
	s_wait_dscnt 0x0
	v_add_f32_e32 v11, v10, v12
	ds_bpermute_b32 v10, v18, v9
	ds_bpermute_b32 v12, v18, v11
	s_and_saveexec_b32 s20, s1
	s_cbranch_execz .LBB72_8
; %bb.21:                               ;   in Loop: Header=BB72_9 Depth=1
	s_wait_dscnt 0x0
	v_dual_add_f32 v11, v11, v12 :: v_dual_add_f32 v12, v9, v10
	s_delay_alu instid0(VALU_DEP_1) | instskip(SKIP_1) | instid1(VALU_DEP_2)
	v_mul_f32_e64 v9, v11, -v2
	v_dual_mul_f32 v10, v1, v11 :: v_dual_add_nc_u32 v11, s13, v5
	v_fmac_f32_e32 v9, v1, v12
	s_delay_alu instid0(VALU_DEP_2) | instskip(NEXT) | instid1(VALU_DEP_3)
	v_fmac_f32_e32 v10, v2, v12
	v_ashrrev_i32_e32 v12, 31, v11
	s_and_saveexec_b32 s21, s25
	s_wait_alu 0xfffe
	s_xor_b32 s21, exec_lo, s21
	s_cbranch_execz .LBB72_23
; %bb.22:                               ;   in Loop: Header=BB72_9 Depth=1
	v_lshlrev_b64_e32 v[11:12], 3, v[11:12]
	s_delay_alu instid0(VALU_DEP_1) | instskip(SKIP_1) | instid1(VALU_DEP_2)
	v_add_co_u32 v11, vcc_lo, s4, v11
	s_wait_alu 0xfffd
	v_add_co_ci_u32_e64 v12, null, s5, v12, vcc_lo
	global_store_b64 v[11:12], v[9:10], off
                                        ; implicit-def: $vgpr11
                                        ; implicit-def: $vgpr9
.LBB72_23:                              ;   in Loop: Header=BB72_9 Depth=1
	s_wait_alu 0xfffe
	s_and_not1_saveexec_b32 s21, s21
	s_cbranch_execz .LBB72_8
; %bb.24:                               ;   in Loop: Header=BB72_9 Depth=1
	v_lshlrev_b64_e32 v[11:12], 3, v[11:12]
	s_delay_alu instid0(VALU_DEP_1) | instskip(SKIP_1) | instid1(VALU_DEP_2)
	v_add_co_u32 v11, vcc_lo, s4, v11
	s_wait_alu 0xfffd
	v_add_co_ci_u32_e64 v12, null, s5, v12, vcc_lo
	global_load_b64 v[13:14], v[11:12], off
	s_wait_loadcnt 0x0
	v_fmac_f32_e32 v9, v3, v13
	v_fmac_f32_e32 v10, v4, v13
	s_delay_alu instid0(VALU_DEP_2) | instskip(NEXT) | instid1(VALU_DEP_2)
	v_fma_f32 v9, -v4, v14, v9
	v_fmac_f32_e32 v10, v3, v14
	global_store_b64 v[11:12], v[9:10], off
	s_branch .LBB72_8
.LBB72_25:
	s_endpgm
	.section	.rodata,"a",@progbits
	.p2align	6, 0x0
	.amdhsa_kernel _ZN9rocsparseL22bsrxmvn_general_kernelILj64ELj8E21rocsparse_complex_numIfEiifS2_S2_EEv20rocsparse_direction_NS_24const_host_device_scalarIT1_EET3_PKS7_PKT2_SC_S9_PKT4_S7_PKT5_S6_PT6_21rocsparse_index_base_b
		.amdhsa_group_segment_fixed_size 0
		.amdhsa_private_segment_fixed_size 0
		.amdhsa_kernarg_size 104
		.amdhsa_user_sgpr_count 2
		.amdhsa_user_sgpr_dispatch_ptr 0
		.amdhsa_user_sgpr_queue_ptr 0
		.amdhsa_user_sgpr_kernarg_segment_ptr 1
		.amdhsa_user_sgpr_dispatch_id 0
		.amdhsa_user_sgpr_private_segment_size 0
		.amdhsa_wavefront_size32 1
		.amdhsa_uses_dynamic_stack 0
		.amdhsa_enable_private_segment 0
		.amdhsa_system_sgpr_workgroup_id_x 1
		.amdhsa_system_sgpr_workgroup_id_y 0
		.amdhsa_system_sgpr_workgroup_id_z 0
		.amdhsa_system_sgpr_workgroup_info 0
		.amdhsa_system_vgpr_workitem_id 0
		.amdhsa_next_free_vgpr 27
		.amdhsa_next_free_sgpr 30
		.amdhsa_reserve_vcc 1
		.amdhsa_float_round_mode_32 0
		.amdhsa_float_round_mode_16_64 0
		.amdhsa_float_denorm_mode_32 3
		.amdhsa_float_denorm_mode_16_64 3
		.amdhsa_fp16_overflow 0
		.amdhsa_workgroup_processor_mode 1
		.amdhsa_memory_ordered 1
		.amdhsa_forward_progress 1
		.amdhsa_inst_pref_size 12
		.amdhsa_round_robin_scheduling 0
		.amdhsa_exception_fp_ieee_invalid_op 0
		.amdhsa_exception_fp_denorm_src 0
		.amdhsa_exception_fp_ieee_div_zero 0
		.amdhsa_exception_fp_ieee_overflow 0
		.amdhsa_exception_fp_ieee_underflow 0
		.amdhsa_exception_fp_ieee_inexact 0
		.amdhsa_exception_int_div_zero 0
	.end_amdhsa_kernel
	.section	.text._ZN9rocsparseL22bsrxmvn_general_kernelILj64ELj8E21rocsparse_complex_numIfEiifS2_S2_EEv20rocsparse_direction_NS_24const_host_device_scalarIT1_EET3_PKS7_PKT2_SC_S9_PKT4_S7_PKT5_S6_PT6_21rocsparse_index_base_b,"axG",@progbits,_ZN9rocsparseL22bsrxmvn_general_kernelILj64ELj8E21rocsparse_complex_numIfEiifS2_S2_EEv20rocsparse_direction_NS_24const_host_device_scalarIT1_EET3_PKS7_PKT2_SC_S9_PKT4_S7_PKT5_S6_PT6_21rocsparse_index_base_b,comdat
.Lfunc_end72:
	.size	_ZN9rocsparseL22bsrxmvn_general_kernelILj64ELj8E21rocsparse_complex_numIfEiifS2_S2_EEv20rocsparse_direction_NS_24const_host_device_scalarIT1_EET3_PKS7_PKT2_SC_S9_PKT4_S7_PKT5_S6_PT6_21rocsparse_index_base_b, .Lfunc_end72-_ZN9rocsparseL22bsrxmvn_general_kernelILj64ELj8E21rocsparse_complex_numIfEiifS2_S2_EEv20rocsparse_direction_NS_24const_host_device_scalarIT1_EET3_PKS7_PKT2_SC_S9_PKT4_S7_PKT5_S6_PT6_21rocsparse_index_base_b
                                        ; -- End function
	.set _ZN9rocsparseL22bsrxmvn_general_kernelILj64ELj8E21rocsparse_complex_numIfEiifS2_S2_EEv20rocsparse_direction_NS_24const_host_device_scalarIT1_EET3_PKS7_PKT2_SC_S9_PKT4_S7_PKT5_S6_PT6_21rocsparse_index_base_b.num_vgpr, 27
	.set _ZN9rocsparseL22bsrxmvn_general_kernelILj64ELj8E21rocsparse_complex_numIfEiifS2_S2_EEv20rocsparse_direction_NS_24const_host_device_scalarIT1_EET3_PKS7_PKT2_SC_S9_PKT4_S7_PKT5_S6_PT6_21rocsparse_index_base_b.num_agpr, 0
	.set _ZN9rocsparseL22bsrxmvn_general_kernelILj64ELj8E21rocsparse_complex_numIfEiifS2_S2_EEv20rocsparse_direction_NS_24const_host_device_scalarIT1_EET3_PKS7_PKT2_SC_S9_PKT4_S7_PKT5_S6_PT6_21rocsparse_index_base_b.numbered_sgpr, 30
	.set _ZN9rocsparseL22bsrxmvn_general_kernelILj64ELj8E21rocsparse_complex_numIfEiifS2_S2_EEv20rocsparse_direction_NS_24const_host_device_scalarIT1_EET3_PKS7_PKT2_SC_S9_PKT4_S7_PKT5_S6_PT6_21rocsparse_index_base_b.num_named_barrier, 0
	.set _ZN9rocsparseL22bsrxmvn_general_kernelILj64ELj8E21rocsparse_complex_numIfEiifS2_S2_EEv20rocsparse_direction_NS_24const_host_device_scalarIT1_EET3_PKS7_PKT2_SC_S9_PKT4_S7_PKT5_S6_PT6_21rocsparse_index_base_b.private_seg_size, 0
	.set _ZN9rocsparseL22bsrxmvn_general_kernelILj64ELj8E21rocsparse_complex_numIfEiifS2_S2_EEv20rocsparse_direction_NS_24const_host_device_scalarIT1_EET3_PKS7_PKT2_SC_S9_PKT4_S7_PKT5_S6_PT6_21rocsparse_index_base_b.uses_vcc, 1
	.set _ZN9rocsparseL22bsrxmvn_general_kernelILj64ELj8E21rocsparse_complex_numIfEiifS2_S2_EEv20rocsparse_direction_NS_24const_host_device_scalarIT1_EET3_PKS7_PKT2_SC_S9_PKT4_S7_PKT5_S6_PT6_21rocsparse_index_base_b.uses_flat_scratch, 0
	.set _ZN9rocsparseL22bsrxmvn_general_kernelILj64ELj8E21rocsparse_complex_numIfEiifS2_S2_EEv20rocsparse_direction_NS_24const_host_device_scalarIT1_EET3_PKS7_PKT2_SC_S9_PKT4_S7_PKT5_S6_PT6_21rocsparse_index_base_b.has_dyn_sized_stack, 0
	.set _ZN9rocsparseL22bsrxmvn_general_kernelILj64ELj8E21rocsparse_complex_numIfEiifS2_S2_EEv20rocsparse_direction_NS_24const_host_device_scalarIT1_EET3_PKS7_PKT2_SC_S9_PKT4_S7_PKT5_S6_PT6_21rocsparse_index_base_b.has_recursion, 0
	.set _ZN9rocsparseL22bsrxmvn_general_kernelILj64ELj8E21rocsparse_complex_numIfEiifS2_S2_EEv20rocsparse_direction_NS_24const_host_device_scalarIT1_EET3_PKS7_PKT2_SC_S9_PKT4_S7_PKT5_S6_PT6_21rocsparse_index_base_b.has_indirect_call, 0
	.section	.AMDGPU.csdata,"",@progbits
; Kernel info:
; codeLenInByte = 1412
; TotalNumSgprs: 32
; NumVgprs: 27
; ScratchSize: 0
; MemoryBound: 0
; FloatMode: 240
; IeeeMode: 1
; LDSByteSize: 0 bytes/workgroup (compile time only)
; SGPRBlocks: 0
; VGPRBlocks: 3
; NumSGPRsForWavesPerEU: 32
; NumVGPRsForWavesPerEU: 27
; Occupancy: 16
; WaveLimiterHint : 1
; COMPUTE_PGM_RSRC2:SCRATCH_EN: 0
; COMPUTE_PGM_RSRC2:USER_SGPR: 2
; COMPUTE_PGM_RSRC2:TRAP_HANDLER: 0
; COMPUTE_PGM_RSRC2:TGID_X_EN: 1
; COMPUTE_PGM_RSRC2:TGID_Y_EN: 0
; COMPUTE_PGM_RSRC2:TGID_Z_EN: 0
; COMPUTE_PGM_RSRC2:TIDIG_COMP_CNT: 0
	.section	.text._ZN9rocsparseL22bsrxmvn_general_kernelILj256ELj16E21rocsparse_complex_numIfEiifS2_S2_EEv20rocsparse_direction_NS_24const_host_device_scalarIT1_EET3_PKS7_PKT2_SC_S9_PKT4_S7_PKT5_S6_PT6_21rocsparse_index_base_b,"axG",@progbits,_ZN9rocsparseL22bsrxmvn_general_kernelILj256ELj16E21rocsparse_complex_numIfEiifS2_S2_EEv20rocsparse_direction_NS_24const_host_device_scalarIT1_EET3_PKS7_PKT2_SC_S9_PKT4_S7_PKT5_S6_PT6_21rocsparse_index_base_b,comdat
	.globl	_ZN9rocsparseL22bsrxmvn_general_kernelILj256ELj16E21rocsparse_complex_numIfEiifS2_S2_EEv20rocsparse_direction_NS_24const_host_device_scalarIT1_EET3_PKS7_PKT2_SC_S9_PKT4_S7_PKT5_S6_PT6_21rocsparse_index_base_b ; -- Begin function _ZN9rocsparseL22bsrxmvn_general_kernelILj256ELj16E21rocsparse_complex_numIfEiifS2_S2_EEv20rocsparse_direction_NS_24const_host_device_scalarIT1_EET3_PKS7_PKT2_SC_S9_PKT4_S7_PKT5_S6_PT6_21rocsparse_index_base_b
	.p2align	8
	.type	_ZN9rocsparseL22bsrxmvn_general_kernelILj256ELj16E21rocsparse_complex_numIfEiifS2_S2_EEv20rocsparse_direction_NS_24const_host_device_scalarIT1_EET3_PKS7_PKT2_SC_S9_PKT4_S7_PKT5_S6_PT6_21rocsparse_index_base_b,@function
_ZN9rocsparseL22bsrxmvn_general_kernelILj256ELj16E21rocsparse_complex_numIfEiifS2_S2_EEv20rocsparse_direction_NS_24const_host_device_scalarIT1_EET3_PKS7_PKT2_SC_S9_PKT4_S7_PKT5_S6_PT6_21rocsparse_index_base_b: ; @_ZN9rocsparseL22bsrxmvn_general_kernelILj256ELj16E21rocsparse_complex_numIfEiifS2_S2_EEv20rocsparse_direction_NS_24const_host_device_scalarIT1_EET3_PKS7_PKT2_SC_S9_PKT4_S7_PKT5_S6_PT6_21rocsparse_index_base_b
; %bb.0:
	s_clause 0x2
	s_load_b64 s[12:13], s[0:1], 0x60
	s_load_b64 s[2:3], s[0:1], 0x8
	s_load_b64 s[4:5], s[0:1], 0x50
	s_add_nc_u64 s[6:7], s[0:1], 8
	s_wait_kmcnt 0x0
	s_bitcmp1_b32 s13, 0
	s_cselect_b32 s2, s6, s2
	s_cselect_b32 s3, s7, s3
	s_delay_alu instid0(SALU_CYCLE_1)
	v_dual_mov_b32 v1, s2 :: v_dual_mov_b32 v2, s3
	s_add_nc_u64 s[2:3], s[0:1], 0x50
	s_wait_alu 0xfffe
	s_cselect_b32 s2, s2, s4
	s_cselect_b32 s3, s3, s5
	flat_load_b64 v[1:2], v[1:2]
	s_wait_alu 0xfffe
	v_dual_mov_b32 v3, s2 :: v_dual_mov_b32 v4, s3
	flat_load_b64 v[3:4], v[3:4]
	s_wait_loadcnt_dscnt 0x101
	v_cmp_eq_f32_e32 vcc_lo, 0, v1
	v_cmp_eq_f32_e64 s2, 0, v2
	s_and_b32 s4, vcc_lo, s2
	s_mov_b32 s2, -1
	s_and_saveexec_b32 s3, s4
	s_cbranch_execz .LBB73_2
; %bb.1:
	s_wait_loadcnt_dscnt 0x0
	v_cmp_neq_f32_e32 vcc_lo, 1.0, v3
	v_cmp_neq_f32_e64 s2, 0, v4
	s_wait_alu 0xfffe
	s_or_b32 s2, vcc_lo, s2
	s_wait_alu 0xfffe
	s_or_not1_b32 s2, s2, exec_lo
.LBB73_2:
	s_wait_alu 0xfffe
	s_or_b32 exec_lo, exec_lo, s3
	s_and_saveexec_b32 s3, s2
	s_cbranch_execz .LBB73_25
; %bb.3:
	s_load_b64 s[2:3], s[0:1], 0x18
	s_wait_kmcnt 0x0
	s_cmp_eq_u64 s[2:3], 0
	s_cbranch_scc1 .LBB73_5
; %bb.4:
	s_mov_b32 s4, ttmp9
	s_ashr_i32 s5, ttmp9, 31
	s_delay_alu instid0(SALU_CYCLE_1) | instskip(NEXT) | instid1(SALU_CYCLE_1)
	s_lshl_b64 s[4:5], s[4:5], 2
	s_add_nc_u64 s[2:3], s[2:3], s[4:5]
	s_load_b32 s2, s[2:3], 0x0
	s_wait_kmcnt 0x0
	s_sub_co_i32 s18, s2, s12
	s_branch .LBB73_6
.LBB73_5:
	s_mov_b32 s18, ttmp9
.LBB73_6:
	s_load_b32 s14, s[0:1], 0x40
	v_lshrrev_b32_e32 v5, 4, v0
	s_wait_kmcnt 0x0
	s_delay_alu instid0(VALU_DEP_1)
	v_cmp_gt_i32_e32 vcc_lo, s14, v5
	s_and_b32 exec_lo, exec_lo, vcc_lo
	s_cbranch_execz .LBB73_25
; %bb.7:
	s_load_b256 s[4:11], s[0:1], 0x20
	s_ashr_i32 s19, s18, 31
	v_mbcnt_lo_u32_b32 v9, -1, 0
	s_lshl_b64 s[20:21], s[18:19], 2
	s_mul_i32 s13, s18, s14
	s_load_b32 s24, s[0:1], 0x0
	v_dual_mov_b32 v6, 0 :: v_dual_and_b32 v7, 15, v0
	v_xor_b32_e32 v10, 8, v9
	v_xor_b32_e32 v11, 4, v9
	;; [unrolled: 1-line block ×4, first 2 shown]
	v_mul_lo_u32 v0, s14, v5
	v_cmp_gt_i32_e64 s3, 32, v10
	v_mul_lo_u32 v15, s14, v7
	s_wait_loadcnt_dscnt 0x0
	v_cmp_eq_f32_e32 vcc_lo, 0, v3
	v_cmp_eq_f32_e64 s2, 0, v4
	s_mov_b32 s15, 0
	s_wait_alu 0xf1ff
	v_cndmask_b32_e64 v10, v9, v10, s3
	v_cmp_gt_i32_e64 s3, 32, v11
	s_wait_kmcnt 0x0
	s_add_nc_u64 s[22:23], s[4:5], s[20:21]
	s_load_b32 s19, s[22:23], 0x0
	s_clause 0x1
	s_load_b64 s[4:5], s[0:1], 0x58
	s_load_b64 s[16:17], s[0:1], 0x48
	s_add_nc_u64 s[0:1], s[6:7], s[20:21]
	s_add_nc_u64 s[20:21], s[22:23], 4
	v_cndmask_b32_e64 v11, v9, v11, s3
	v_cmp_gt_i32_e64 s3, 32, v12
	v_mov_b32_e32 v8, v6
	v_lshlrev_b32_e32 v16, 2, v10
	s_delay_alu instid0(VALU_DEP_4) | instskip(SKIP_3) | instid1(VALU_DEP_2)
	v_lshlrev_b32_e32 v17, 2, v11
	s_wait_alu 0xf1ff
	v_cndmask_b32_e64 v12, v9, v12, s3
	v_cmp_gt_i32_e64 s3, 32, v13
	v_lshlrev_b32_e32 v18, 2, v12
	s_wait_alu 0xf1ff
	s_delay_alu instid0(VALU_DEP_2) | instskip(SKIP_3) | instid1(VALU_DEP_1)
	v_cndmask_b32_e64 v9, v9, v13, s3
	s_wait_kmcnt 0x0
	s_sub_co_i32 s18, s19, s12
	s_cmp_eq_u64 s[6:7], 0
	v_lshlrev_b32_e32 v19, 2, v9
	s_cselect_b32 s1, s21, s1
	s_cselect_b32 s0, s20, s0
	s_mul_u64 s[6:7], s[14:15], s[14:15]
	s_load_b32 s20, s[0:1], 0x0
	v_cmp_gt_u32_e64 s0, s14, v7
	v_cmp_eq_u32_e64 s1, 15, v7
	s_wait_kmcnt 0x0
	s_sub_co_i32 s22, s20, s12
	s_cmp_lt_i32 s19, s20
	s_cselect_b32 s23, -1, 0
	s_cmp_lg_u32 s24, 0
	s_cselect_b32 s24, -1, 0
	s_ashr_i32 s19, s18, 31
	s_and_b32 s25, vcc_lo, s2
	s_mul_u64 s[2:3], s[18:19], s[6:7]
	s_lshl_b32 s19, s14, 4
	s_branch .LBB73_9
.LBB73_8:                               ;   in Loop: Header=BB73_9 Depth=1
	s_wait_alu 0xfffe
	s_or_b32 exec_lo, exec_lo, s20
	v_add_nc_u32_e32 v5, 16, v5
	v_add_nc_u32_e32 v0, s19, v0
	s_delay_alu instid0(VALU_DEP_2)
	v_cmp_le_i32_e32 vcc_lo, s14, v5
	s_or_b32 s15, vcc_lo, s15
	s_wait_alu 0xfffe
	s_and_not1_b32 exec_lo, exec_lo, s15
	s_cbranch_execz .LBB73_25
.LBB73_9:                               ; =>This Loop Header: Depth=1
                                        ;     Child Loop BB73_13 Depth 2
                                        ;       Child Loop BB73_16 Depth 3
	v_dual_mov_b32 v20, 0 :: v_dual_mov_b32 v21, 0
	s_and_not1_b32 vcc_lo, exec_lo, s23
	s_wait_alu 0xfffe
	s_cbranch_vccnz .LBB73_20
; %bb.10:                               ;   in Loop: Header=BB73_9 Depth=1
	v_ashrrev_i32_e32 v9, 31, v0
	v_add_co_u32 v22, vcc_lo, s2, v0
	v_dual_mov_b32 v20, 0 :: v_dual_mov_b32 v21, 0
	s_wait_alu 0xfffd
	s_delay_alu instid0(VALU_DEP_3)
	v_add_co_ci_u32_e64 v23, null, s3, v9, vcc_lo
	s_mov_b32 s20, s18
	s_branch .LBB73_13
.LBB73_11:                              ;   in Loop: Header=BB73_13 Depth=2
	s_or_b32 exec_lo, exec_lo, s21
.LBB73_12:                              ;   in Loop: Header=BB73_13 Depth=2
	s_wait_alu 0xfffe
	s_or_b32 exec_lo, exec_lo, s26
	v_add_co_u32 v22, vcc_lo, v22, s6
	s_wait_alu 0xfffd
	v_add_co_ci_u32_e64 v23, null, s7, v23, vcc_lo
	s_add_co_i32 s20, s20, 1
	s_wait_alu 0xfffe
	s_cmp_ge_i32 s20, s22
	s_cbranch_scc1 .LBB73_20
.LBB73_13:                              ;   Parent Loop BB73_9 Depth=1
                                        ; =>  This Loop Header: Depth=2
                                        ;       Child Loop BB73_16 Depth 3
	s_and_saveexec_b32 s26, s0
	s_cbranch_execz .LBB73_12
; %bb.14:                               ;   in Loop: Header=BB73_13 Depth=2
	s_wait_alu 0xfffe
	s_ashr_i32 s21, s20, 31
	s_wait_dscnt 0x1
	v_mad_co_u64_u32 v[9:10], null, s6, s20, v[5:6]
	s_wait_alu 0xfffe
	s_lshl_b64 s[28:29], s[20:21], 2
	s_mul_i32 s21, s6, s21
	s_wait_alu 0xfffe
	s_add_nc_u64 s[28:29], s[8:9], s[28:29]
	s_wait_dscnt 0x0
	v_mov_b32_e32 v12, v8
	s_load_b32 s27, s[28:29], 0x0
	s_mul_i32 s28, s7, s20
	v_dual_mov_b32 v24, v15 :: v_dual_mov_b32 v11, v7
	s_wait_alu 0xfffe
	v_add3_u32 v10, s21, s28, v10
	s_wait_kmcnt 0x0
	s_sub_co_i32 s21, s27, s12
	s_wait_alu 0xfffe
	s_mul_i32 s27, s21, s14
	s_mov_b32 s21, 0
	s_branch .LBB73_16
.LBB73_15:                              ;   in Loop: Header=BB73_16 Depth=3
	v_add_nc_u32_e32 v25, s27, v11
	s_delay_alu instid0(VALU_DEP_2) | instskip(SKIP_1) | instid1(VALU_DEP_3)
	v_lshlrev_b64_e32 v[13:14], 2, v[13:14]
	v_add_nc_u32_e32 v24, s19, v24
	v_ashrrev_i32_e32 v26, 31, v25
	s_delay_alu instid0(VALU_DEP_3) | instskip(SKIP_1) | instid1(VALU_DEP_4)
	v_add_co_u32 v13, vcc_lo, s10, v13
	s_wait_alu 0xfffd
	v_add_co_ci_u32_e64 v14, null, s11, v14, vcc_lo
	s_delay_alu instid0(VALU_DEP_3) | instskip(NEXT) | instid1(VALU_DEP_1)
	v_lshlrev_b64_e32 v[25:26], 3, v[25:26]
	v_add_co_u32 v25, vcc_lo, s16, v25
	s_wait_alu 0xfffd
	s_delay_alu instid0(VALU_DEP_2)
	v_add_co_ci_u32_e64 v26, null, s17, v26, vcc_lo
	global_load_b32 v27, v[13:14], off
	global_load_b64 v[13:14], v[25:26], off
	v_add_co_u32 v11, vcc_lo, v11, 16
	s_wait_alu 0xfffd
	v_add_co_ci_u32_e64 v12, null, 0, v12, vcc_lo
	s_delay_alu instid0(VALU_DEP_2) | instskip(SKIP_3) | instid1(VALU_DEP_1)
	v_cmp_le_i32_e32 vcc_lo, s14, v11
	s_or_b32 s21, vcc_lo, s21
	s_wait_loadcnt 0x0
	v_fmac_f32_e32 v21, v27, v13
	v_dual_fmac_f32 v20, 0, v13 :: v_dual_fmac_f32 v21, 0x80000000, v14
	s_delay_alu instid0(VALU_DEP_1)
	v_fmac_f32_e32 v20, v27, v14
	s_wait_alu 0xfffe
	s_and_not1_b32 exec_lo, exec_lo, s21
	s_cbranch_execz .LBB73_11
.LBB73_16:                              ;   Parent Loop BB73_9 Depth=1
                                        ;     Parent Loop BB73_13 Depth=2
                                        ; =>    This Inner Loop Header: Depth=3
	s_and_b32 vcc_lo, exec_lo, s24
	s_wait_alu 0xfffe
	s_cbranch_vccz .LBB73_18
; %bb.17:                               ;   in Loop: Header=BB73_16 Depth=3
	v_ashrrev_i32_e32 v14, 31, v24
	v_add_co_u32 v13, vcc_lo, v9, v24
	s_wait_alu 0xfffd
	s_delay_alu instid0(VALU_DEP_2)
	v_add_co_ci_u32_e64 v14, null, v10, v14, vcc_lo
	s_cbranch_execnz .LBB73_15
	s_branch .LBB73_19
.LBB73_18:                              ;   in Loop: Header=BB73_16 Depth=3
                                        ; implicit-def: $vgpr13_vgpr14
.LBB73_19:                              ;   in Loop: Header=BB73_16 Depth=3
	v_add_co_u32 v13, vcc_lo, v22, v11
	s_wait_alu 0xfffd
	v_add_co_ci_u32_e64 v14, null, v23, v12, vcc_lo
	s_branch .LBB73_15
.LBB73_20:                              ;   in Loop: Header=BB73_9 Depth=1
	ds_bpermute_b32 v9, v16, v21
	s_wait_dscnt 0x2
	ds_bpermute_b32 v10, v16, v20
	s_wait_dscnt 0x0
	v_dual_add_f32 v9, v21, v9 :: v_dual_add_f32 v10, v20, v10
	ds_bpermute_b32 v11, v17, v9
	ds_bpermute_b32 v12, v17, v10
	s_wait_dscnt 0x0
	v_dual_add_f32 v9, v9, v11 :: v_dual_add_f32 v10, v10, v12
	ds_bpermute_b32 v11, v18, v9
	ds_bpermute_b32 v12, v18, v10
	s_wait_dscnt 0x1
	v_add_f32_e32 v9, v9, v11
	s_wait_dscnt 0x0
	v_add_f32_e32 v11, v10, v12
	ds_bpermute_b32 v10, v19, v9
	ds_bpermute_b32 v12, v19, v11
	s_and_saveexec_b32 s20, s1
	s_cbranch_execz .LBB73_8
; %bb.21:                               ;   in Loop: Header=BB73_9 Depth=1
	s_wait_dscnt 0x0
	v_dual_add_f32 v11, v11, v12 :: v_dual_add_f32 v12, v9, v10
	s_delay_alu instid0(VALU_DEP_1) | instskip(SKIP_1) | instid1(VALU_DEP_2)
	v_mul_f32_e64 v9, v11, -v2
	v_dual_mul_f32 v10, v1, v11 :: v_dual_add_nc_u32 v11, s13, v5
	v_fmac_f32_e32 v9, v1, v12
	s_delay_alu instid0(VALU_DEP_2) | instskip(NEXT) | instid1(VALU_DEP_3)
	v_fmac_f32_e32 v10, v2, v12
	v_ashrrev_i32_e32 v12, 31, v11
	s_and_saveexec_b32 s21, s25
	s_wait_alu 0xfffe
	s_xor_b32 s21, exec_lo, s21
	s_cbranch_execz .LBB73_23
; %bb.22:                               ;   in Loop: Header=BB73_9 Depth=1
	v_lshlrev_b64_e32 v[11:12], 3, v[11:12]
	s_delay_alu instid0(VALU_DEP_1) | instskip(SKIP_1) | instid1(VALU_DEP_2)
	v_add_co_u32 v11, vcc_lo, s4, v11
	s_wait_alu 0xfffd
	v_add_co_ci_u32_e64 v12, null, s5, v12, vcc_lo
	global_store_b64 v[11:12], v[9:10], off
                                        ; implicit-def: $vgpr11
                                        ; implicit-def: $vgpr9
.LBB73_23:                              ;   in Loop: Header=BB73_9 Depth=1
	s_wait_alu 0xfffe
	s_and_not1_saveexec_b32 s21, s21
	s_cbranch_execz .LBB73_8
; %bb.24:                               ;   in Loop: Header=BB73_9 Depth=1
	v_lshlrev_b64_e32 v[11:12], 3, v[11:12]
	s_delay_alu instid0(VALU_DEP_1) | instskip(SKIP_1) | instid1(VALU_DEP_2)
	v_add_co_u32 v11, vcc_lo, s4, v11
	s_wait_alu 0xfffd
	v_add_co_ci_u32_e64 v12, null, s5, v12, vcc_lo
	global_load_b64 v[13:14], v[11:12], off
	s_wait_loadcnt 0x0
	v_fmac_f32_e32 v9, v3, v13
	v_fmac_f32_e32 v10, v4, v13
	s_delay_alu instid0(VALU_DEP_2) | instskip(NEXT) | instid1(VALU_DEP_2)
	v_fma_f32 v9, -v4, v14, v9
	v_fmac_f32_e32 v10, v3, v14
	global_store_b64 v[11:12], v[9:10], off
	s_branch .LBB73_8
.LBB73_25:
	s_endpgm
	.section	.rodata,"a",@progbits
	.p2align	6, 0x0
	.amdhsa_kernel _ZN9rocsparseL22bsrxmvn_general_kernelILj256ELj16E21rocsparse_complex_numIfEiifS2_S2_EEv20rocsparse_direction_NS_24const_host_device_scalarIT1_EET3_PKS7_PKT2_SC_S9_PKT4_S7_PKT5_S6_PT6_21rocsparse_index_base_b
		.amdhsa_group_segment_fixed_size 0
		.amdhsa_private_segment_fixed_size 0
		.amdhsa_kernarg_size 104
		.amdhsa_user_sgpr_count 2
		.amdhsa_user_sgpr_dispatch_ptr 0
		.amdhsa_user_sgpr_queue_ptr 0
		.amdhsa_user_sgpr_kernarg_segment_ptr 1
		.amdhsa_user_sgpr_dispatch_id 0
		.amdhsa_user_sgpr_private_segment_size 0
		.amdhsa_wavefront_size32 1
		.amdhsa_uses_dynamic_stack 0
		.amdhsa_enable_private_segment 0
		.amdhsa_system_sgpr_workgroup_id_x 1
		.amdhsa_system_sgpr_workgroup_id_y 0
		.amdhsa_system_sgpr_workgroup_id_z 0
		.amdhsa_system_sgpr_workgroup_info 0
		.amdhsa_system_vgpr_workitem_id 0
		.amdhsa_next_free_vgpr 28
		.amdhsa_next_free_sgpr 30
		.amdhsa_reserve_vcc 1
		.amdhsa_float_round_mode_32 0
		.amdhsa_float_round_mode_16_64 0
		.amdhsa_float_denorm_mode_32 3
		.amdhsa_float_denorm_mode_16_64 3
		.amdhsa_fp16_overflow 0
		.amdhsa_workgroup_processor_mode 1
		.amdhsa_memory_ordered 1
		.amdhsa_forward_progress 1
		.amdhsa_inst_pref_size 12
		.amdhsa_round_robin_scheduling 0
		.amdhsa_exception_fp_ieee_invalid_op 0
		.amdhsa_exception_fp_denorm_src 0
		.amdhsa_exception_fp_ieee_div_zero 0
		.amdhsa_exception_fp_ieee_overflow 0
		.amdhsa_exception_fp_ieee_underflow 0
		.amdhsa_exception_fp_ieee_inexact 0
		.amdhsa_exception_int_div_zero 0
	.end_amdhsa_kernel
	.section	.text._ZN9rocsparseL22bsrxmvn_general_kernelILj256ELj16E21rocsparse_complex_numIfEiifS2_S2_EEv20rocsparse_direction_NS_24const_host_device_scalarIT1_EET3_PKS7_PKT2_SC_S9_PKT4_S7_PKT5_S6_PT6_21rocsparse_index_base_b,"axG",@progbits,_ZN9rocsparseL22bsrxmvn_general_kernelILj256ELj16E21rocsparse_complex_numIfEiifS2_S2_EEv20rocsparse_direction_NS_24const_host_device_scalarIT1_EET3_PKS7_PKT2_SC_S9_PKT4_S7_PKT5_S6_PT6_21rocsparse_index_base_b,comdat
.Lfunc_end73:
	.size	_ZN9rocsparseL22bsrxmvn_general_kernelILj256ELj16E21rocsparse_complex_numIfEiifS2_S2_EEv20rocsparse_direction_NS_24const_host_device_scalarIT1_EET3_PKS7_PKT2_SC_S9_PKT4_S7_PKT5_S6_PT6_21rocsparse_index_base_b, .Lfunc_end73-_ZN9rocsparseL22bsrxmvn_general_kernelILj256ELj16E21rocsparse_complex_numIfEiifS2_S2_EEv20rocsparse_direction_NS_24const_host_device_scalarIT1_EET3_PKS7_PKT2_SC_S9_PKT4_S7_PKT5_S6_PT6_21rocsparse_index_base_b
                                        ; -- End function
	.set _ZN9rocsparseL22bsrxmvn_general_kernelILj256ELj16E21rocsparse_complex_numIfEiifS2_S2_EEv20rocsparse_direction_NS_24const_host_device_scalarIT1_EET3_PKS7_PKT2_SC_S9_PKT4_S7_PKT5_S6_PT6_21rocsparse_index_base_b.num_vgpr, 28
	.set _ZN9rocsparseL22bsrxmvn_general_kernelILj256ELj16E21rocsparse_complex_numIfEiifS2_S2_EEv20rocsparse_direction_NS_24const_host_device_scalarIT1_EET3_PKS7_PKT2_SC_S9_PKT4_S7_PKT5_S6_PT6_21rocsparse_index_base_b.num_agpr, 0
	.set _ZN9rocsparseL22bsrxmvn_general_kernelILj256ELj16E21rocsparse_complex_numIfEiifS2_S2_EEv20rocsparse_direction_NS_24const_host_device_scalarIT1_EET3_PKS7_PKT2_SC_S9_PKT4_S7_PKT5_S6_PT6_21rocsparse_index_base_b.numbered_sgpr, 30
	.set _ZN9rocsparseL22bsrxmvn_general_kernelILj256ELj16E21rocsparse_complex_numIfEiifS2_S2_EEv20rocsparse_direction_NS_24const_host_device_scalarIT1_EET3_PKS7_PKT2_SC_S9_PKT4_S7_PKT5_S6_PT6_21rocsparse_index_base_b.num_named_barrier, 0
	.set _ZN9rocsparseL22bsrxmvn_general_kernelILj256ELj16E21rocsparse_complex_numIfEiifS2_S2_EEv20rocsparse_direction_NS_24const_host_device_scalarIT1_EET3_PKS7_PKT2_SC_S9_PKT4_S7_PKT5_S6_PT6_21rocsparse_index_base_b.private_seg_size, 0
	.set _ZN9rocsparseL22bsrxmvn_general_kernelILj256ELj16E21rocsparse_complex_numIfEiifS2_S2_EEv20rocsparse_direction_NS_24const_host_device_scalarIT1_EET3_PKS7_PKT2_SC_S9_PKT4_S7_PKT5_S6_PT6_21rocsparse_index_base_b.uses_vcc, 1
	.set _ZN9rocsparseL22bsrxmvn_general_kernelILj256ELj16E21rocsparse_complex_numIfEiifS2_S2_EEv20rocsparse_direction_NS_24const_host_device_scalarIT1_EET3_PKS7_PKT2_SC_S9_PKT4_S7_PKT5_S6_PT6_21rocsparse_index_base_b.uses_flat_scratch, 0
	.set _ZN9rocsparseL22bsrxmvn_general_kernelILj256ELj16E21rocsparse_complex_numIfEiifS2_S2_EEv20rocsparse_direction_NS_24const_host_device_scalarIT1_EET3_PKS7_PKT2_SC_S9_PKT4_S7_PKT5_S6_PT6_21rocsparse_index_base_b.has_dyn_sized_stack, 0
	.set _ZN9rocsparseL22bsrxmvn_general_kernelILj256ELj16E21rocsparse_complex_numIfEiifS2_S2_EEv20rocsparse_direction_NS_24const_host_device_scalarIT1_EET3_PKS7_PKT2_SC_S9_PKT4_S7_PKT5_S6_PT6_21rocsparse_index_base_b.has_recursion, 0
	.set _ZN9rocsparseL22bsrxmvn_general_kernelILj256ELj16E21rocsparse_complex_numIfEiifS2_S2_EEv20rocsparse_direction_NS_24const_host_device_scalarIT1_EET3_PKS7_PKT2_SC_S9_PKT4_S7_PKT5_S6_PT6_21rocsparse_index_base_b.has_indirect_call, 0
	.section	.AMDGPU.csdata,"",@progbits
; Kernel info:
; codeLenInByte = 1456
; TotalNumSgprs: 32
; NumVgprs: 28
; ScratchSize: 0
; MemoryBound: 0
; FloatMode: 240
; IeeeMode: 1
; LDSByteSize: 0 bytes/workgroup (compile time only)
; SGPRBlocks: 0
; VGPRBlocks: 3
; NumSGPRsForWavesPerEU: 32
; NumVGPRsForWavesPerEU: 28
; Occupancy: 16
; WaveLimiterHint : 1
; COMPUTE_PGM_RSRC2:SCRATCH_EN: 0
; COMPUTE_PGM_RSRC2:USER_SGPR: 2
; COMPUTE_PGM_RSRC2:TRAP_HANDLER: 0
; COMPUTE_PGM_RSRC2:TGID_X_EN: 1
; COMPUTE_PGM_RSRC2:TGID_Y_EN: 0
; COMPUTE_PGM_RSRC2:TGID_Z_EN: 0
; COMPUTE_PGM_RSRC2:TIDIG_COMP_CNT: 0
	.section	.text._ZN9rocsparseL22bsrxmvn_general_kernelILj1024ELj32E21rocsparse_complex_numIfEiifS2_S2_EEv20rocsparse_direction_NS_24const_host_device_scalarIT1_EET3_PKS7_PKT2_SC_S9_PKT4_S7_PKT5_S6_PT6_21rocsparse_index_base_b,"axG",@progbits,_ZN9rocsparseL22bsrxmvn_general_kernelILj1024ELj32E21rocsparse_complex_numIfEiifS2_S2_EEv20rocsparse_direction_NS_24const_host_device_scalarIT1_EET3_PKS7_PKT2_SC_S9_PKT4_S7_PKT5_S6_PT6_21rocsparse_index_base_b,comdat
	.globl	_ZN9rocsparseL22bsrxmvn_general_kernelILj1024ELj32E21rocsparse_complex_numIfEiifS2_S2_EEv20rocsparse_direction_NS_24const_host_device_scalarIT1_EET3_PKS7_PKT2_SC_S9_PKT4_S7_PKT5_S6_PT6_21rocsparse_index_base_b ; -- Begin function _ZN9rocsparseL22bsrxmvn_general_kernelILj1024ELj32E21rocsparse_complex_numIfEiifS2_S2_EEv20rocsparse_direction_NS_24const_host_device_scalarIT1_EET3_PKS7_PKT2_SC_S9_PKT4_S7_PKT5_S6_PT6_21rocsparse_index_base_b
	.p2align	8
	.type	_ZN9rocsparseL22bsrxmvn_general_kernelILj1024ELj32E21rocsparse_complex_numIfEiifS2_S2_EEv20rocsparse_direction_NS_24const_host_device_scalarIT1_EET3_PKS7_PKT2_SC_S9_PKT4_S7_PKT5_S6_PT6_21rocsparse_index_base_b,@function
_ZN9rocsparseL22bsrxmvn_general_kernelILj1024ELj32E21rocsparse_complex_numIfEiifS2_S2_EEv20rocsparse_direction_NS_24const_host_device_scalarIT1_EET3_PKS7_PKT2_SC_S9_PKT4_S7_PKT5_S6_PT6_21rocsparse_index_base_b: ; @_ZN9rocsparseL22bsrxmvn_general_kernelILj1024ELj32E21rocsparse_complex_numIfEiifS2_S2_EEv20rocsparse_direction_NS_24const_host_device_scalarIT1_EET3_PKS7_PKT2_SC_S9_PKT4_S7_PKT5_S6_PT6_21rocsparse_index_base_b
; %bb.0:
	s_clause 0x2
	s_load_b64 s[12:13], s[0:1], 0x60
	s_load_b64 s[2:3], s[0:1], 0x8
	;; [unrolled: 1-line block ×3, first 2 shown]
	s_add_nc_u64 s[6:7], s[0:1], 8
	s_wait_kmcnt 0x0
	s_bitcmp1_b32 s13, 0
	s_cselect_b32 s2, s6, s2
	s_cselect_b32 s3, s7, s3
	s_delay_alu instid0(SALU_CYCLE_1)
	v_dual_mov_b32 v1, s2 :: v_dual_mov_b32 v2, s3
	s_add_nc_u64 s[2:3], s[0:1], 0x50
	s_wait_alu 0xfffe
	s_cselect_b32 s2, s2, s4
	s_cselect_b32 s3, s3, s5
	flat_load_b64 v[1:2], v[1:2]
	s_wait_alu 0xfffe
	v_dual_mov_b32 v3, s2 :: v_dual_mov_b32 v4, s3
	flat_load_b64 v[3:4], v[3:4]
	s_wait_loadcnt_dscnt 0x101
	v_cmp_eq_f32_e32 vcc_lo, 0, v1
	v_cmp_eq_f32_e64 s2, 0, v2
	s_and_b32 s4, vcc_lo, s2
	s_mov_b32 s2, -1
	s_and_saveexec_b32 s3, s4
	s_cbranch_execz .LBB74_2
; %bb.1:
	s_wait_loadcnt_dscnt 0x0
	v_cmp_neq_f32_e32 vcc_lo, 1.0, v3
	v_cmp_neq_f32_e64 s2, 0, v4
	s_wait_alu 0xfffe
	s_or_b32 s2, vcc_lo, s2
	s_wait_alu 0xfffe
	s_or_not1_b32 s2, s2, exec_lo
.LBB74_2:
	s_wait_alu 0xfffe
	s_or_b32 exec_lo, exec_lo, s3
	s_and_saveexec_b32 s3, s2
	s_cbranch_execz .LBB74_25
; %bb.3:
	s_load_b64 s[2:3], s[0:1], 0x18
	s_wait_kmcnt 0x0
	s_cmp_eq_u64 s[2:3], 0
	s_cbranch_scc1 .LBB74_5
; %bb.4:
	s_mov_b32 s4, ttmp9
	s_ashr_i32 s5, ttmp9, 31
	s_delay_alu instid0(SALU_CYCLE_1) | instskip(NEXT) | instid1(SALU_CYCLE_1)
	s_lshl_b64 s[4:5], s[4:5], 2
	s_add_nc_u64 s[2:3], s[2:3], s[4:5]
	s_load_b32 s2, s[2:3], 0x0
	s_wait_kmcnt 0x0
	s_sub_co_i32 s18, s2, s12
	s_branch .LBB74_6
.LBB74_5:
	s_mov_b32 s18, ttmp9
.LBB74_6:
	s_load_b32 s14, s[0:1], 0x40
	v_lshrrev_b32_e32 v5, 5, v0
	s_wait_kmcnt 0x0
	s_delay_alu instid0(VALU_DEP_1)
	v_cmp_gt_i32_e32 vcc_lo, s14, v5
	s_and_b32 exec_lo, exec_lo, vcc_lo
	s_cbranch_execz .LBB74_25
; %bb.7:
	s_load_b256 s[4:11], s[0:1], 0x20
	s_ashr_i32 s19, s18, 31
	v_mbcnt_lo_u32_b32 v9, -1, 0
	s_lshl_b64 s[20:21], s[18:19], 2
	s_load_b32 s27, s[0:1], 0x0
	v_dual_mov_b32 v6, 0 :: v_dual_and_b32 v7, 31, v0
	s_delay_alu instid0(VALU_DEP_2)
	v_xor_b32_e32 v10, 16, v9
	v_xor_b32_e32 v11, 8, v9
	;; [unrolled: 1-line block ×5, first 2 shown]
	v_cmp_gt_i32_e64 s3, 32, v10
	v_mul_lo_u32 v0, s14, v5
	v_mul_lo_u32 v15, s14, v7
	s_wait_loadcnt_dscnt 0x0
	v_cmp_eq_f32_e32 vcc_lo, 0, v3
	v_cmp_eq_f32_e64 s2, 0, v4
	s_wait_alu 0xf1ff
	v_cndmask_b32_e64 v10, v9, v10, s3
	v_cmp_gt_i32_e64 s3, 32, v11
	s_mov_b32 s15, 0
	s_wait_kmcnt 0x0
	s_add_nc_u64 s[22:23], s[4:5], s[20:21]
	s_add_nc_u64 s[24:25], s[6:7], s[20:21]
	s_load_b32 s26, s[22:23], 0x0
	s_clause 0x1
	s_load_b64 s[4:5], s[0:1], 0x58
	s_load_b64 s[16:17], s[0:1], 0x48
	s_add_nc_u64 s[22:23], s[22:23], 4
	v_cndmask_b32_e64 v11, v9, v11, s3
	v_cmp_gt_i32_e64 s3, 32, v12
	v_cmp_gt_u32_e64 s0, s14, v7
	v_cmp_eq_u32_e64 s1, 31, v7
	s_delay_alu instid0(VALU_DEP_4)
	v_dual_mov_b32 v8, v6 :: v_dual_lshlrev_b32 v17, 2, v11
	s_wait_alu 0xf1ff
	v_cndmask_b32_e64 v12, v9, v12, s3
	v_cmp_gt_i32_e64 s3, 32, v13
	v_lshlrev_b32_e32 v16, 2, v10
	s_mul_i32 s13, s18, s14
	s_mul_u64 s[18:19], s[14:15], s[14:15]
	v_lshlrev_b32_e32 v18, 2, v12
	v_cndmask_b32_e64 v13, v9, v13, s3
	v_cmp_gt_i32_e64 s3, 32, v14
	s_wait_kmcnt 0x0
	s_sub_co_i32 s20, s26, s12
	s_cmp_eq_u64 s[6:7], 0
	s_wait_alu 0xf1ff
	v_cndmask_b32_e64 v9, v9, v14, s3
	s_cselect_b32 s7, s23, s25
	s_cselect_b32 s6, s22, s24
	v_lshlrev_b32_e32 v19, 2, v13
	s_load_b32 s6, s[6:7], 0x0
	v_lshlrev_b32_e32 v20, 2, v9
	s_wait_kmcnt 0x0
	s_sub_co_i32 s22, s6, s12
	s_cmp_lt_i32 s26, s6
	s_cselect_b32 s23, -1, 0
	s_cmp_lg_u32 s27, 0
	s_cselect_b32 s24, -1, 0
	s_ashr_i32 s21, s20, 31
	s_and_b32 s25, vcc_lo, s2
	s_mul_u64 s[2:3], s[20:21], s[18:19]
	s_lshl_b32 s21, s14, 5
	s_branch .LBB74_9
.LBB74_8:                               ;   in Loop: Header=BB74_9 Depth=1
	s_wait_alu 0xfffe
	s_or_b32 exec_lo, exec_lo, s6
	v_add_nc_u32_e32 v5, 32, v5
	v_add_nc_u32_e32 v0, s21, v0
	s_delay_alu instid0(VALU_DEP_2)
	v_cmp_le_i32_e32 vcc_lo, s14, v5
	s_or_b32 s15, vcc_lo, s15
	s_wait_alu 0xfffe
	s_and_not1_b32 exec_lo, exec_lo, s15
	s_cbranch_execz .LBB74_25
.LBB74_9:                               ; =>This Loop Header: Depth=1
                                        ;     Child Loop BB74_13 Depth 2
                                        ;       Child Loop BB74_16 Depth 3
	v_dual_mov_b32 v21, 0 :: v_dual_mov_b32 v22, 0
	s_and_not1_b32 vcc_lo, exec_lo, s23
	s_wait_alu 0xfffe
	s_cbranch_vccnz .LBB74_20
; %bb.10:                               ;   in Loop: Header=BB74_9 Depth=1
	v_ashrrev_i32_e32 v9, 31, v0
	v_add_co_u32 v23, vcc_lo, s2, v0
	v_dual_mov_b32 v21, 0 :: v_dual_mov_b32 v22, 0
	s_wait_alu 0xfffd
	s_delay_alu instid0(VALU_DEP_3)
	v_add_co_ci_u32_e64 v24, null, s3, v9, vcc_lo
	s_mov_b32 s6, s20
	s_branch .LBB74_13
.LBB74_11:                              ;   in Loop: Header=BB74_13 Depth=2
	s_or_b32 exec_lo, exec_lo, s7
.LBB74_12:                              ;   in Loop: Header=BB74_13 Depth=2
	s_wait_alu 0xfffe
	s_or_b32 exec_lo, exec_lo, s26
	v_add_co_u32 v23, vcc_lo, v23, s18
	s_wait_alu 0xfffd
	v_add_co_ci_u32_e64 v24, null, s19, v24, vcc_lo
	s_add_co_i32 s6, s6, 1
	s_wait_alu 0xfffe
	s_cmp_ge_i32 s6, s22
	s_cbranch_scc1 .LBB74_20
.LBB74_13:                              ;   Parent Loop BB74_9 Depth=1
                                        ; =>  This Loop Header: Depth=2
                                        ;       Child Loop BB74_16 Depth 3
	s_and_saveexec_b32 s26, s0
	s_cbranch_execz .LBB74_12
; %bb.14:                               ;   in Loop: Header=BB74_13 Depth=2
	s_wait_alu 0xfffe
	s_ashr_i32 s7, s6, 31
	s_wait_dscnt 0x1
	v_mad_co_u64_u32 v[9:10], null, s18, s6, v[5:6]
	s_wait_alu 0xfffe
	s_lshl_b64 s[28:29], s[6:7], 2
	s_mul_i32 s7, s18, s7
	s_wait_alu 0xfffe
	s_add_nc_u64 s[28:29], s[8:9], s[28:29]
	s_wait_dscnt 0x0
	v_dual_mov_b32 v25, v15 :: v_dual_mov_b32 v12, v8
	s_load_b32 s27, s[28:29], 0x0
	s_mul_i32 s28, s19, s6
	v_mov_b32_e32 v11, v7
	s_wait_alu 0xfffe
	v_add3_u32 v10, s7, s28, v10
	s_wait_kmcnt 0x0
	s_sub_co_i32 s7, s27, s12
	s_wait_alu 0xfffe
	s_mul_i32 s27, s7, s14
	s_mov_b32 s7, 0
	s_branch .LBB74_16
.LBB74_15:                              ;   in Loop: Header=BB74_16 Depth=3
	v_add_nc_u32_e32 v26, s27, v11
	s_delay_alu instid0(VALU_DEP_2) | instskip(SKIP_1) | instid1(VALU_DEP_3)
	v_lshlrev_b64_e32 v[13:14], 2, v[13:14]
	v_add_nc_u32_e32 v25, s21, v25
	v_ashrrev_i32_e32 v27, 31, v26
	s_delay_alu instid0(VALU_DEP_3) | instskip(SKIP_1) | instid1(VALU_DEP_4)
	v_add_co_u32 v13, vcc_lo, s10, v13
	s_wait_alu 0xfffd
	v_add_co_ci_u32_e64 v14, null, s11, v14, vcc_lo
	s_delay_alu instid0(VALU_DEP_3) | instskip(NEXT) | instid1(VALU_DEP_1)
	v_lshlrev_b64_e32 v[26:27], 3, v[26:27]
	v_add_co_u32 v26, vcc_lo, s16, v26
	s_wait_alu 0xfffd
	s_delay_alu instid0(VALU_DEP_2)
	v_add_co_ci_u32_e64 v27, null, s17, v27, vcc_lo
	global_load_b32 v28, v[13:14], off
	global_load_b64 v[13:14], v[26:27], off
	v_add_co_u32 v11, vcc_lo, v11, 32
	s_wait_alu 0xfffd
	v_add_co_ci_u32_e64 v12, null, 0, v12, vcc_lo
	s_delay_alu instid0(VALU_DEP_2) | instskip(SKIP_3) | instid1(VALU_DEP_1)
	v_cmp_le_i32_e32 vcc_lo, s14, v11
	s_or_b32 s7, vcc_lo, s7
	s_wait_loadcnt 0x0
	v_fmac_f32_e32 v22, v28, v13
	v_dual_fmac_f32 v21, 0, v13 :: v_dual_fmac_f32 v22, 0x80000000, v14
	s_delay_alu instid0(VALU_DEP_1)
	v_fmac_f32_e32 v21, v28, v14
	s_wait_alu 0xfffe
	s_and_not1_b32 exec_lo, exec_lo, s7
	s_cbranch_execz .LBB74_11
.LBB74_16:                              ;   Parent Loop BB74_9 Depth=1
                                        ;     Parent Loop BB74_13 Depth=2
                                        ; =>    This Inner Loop Header: Depth=3
	s_and_b32 vcc_lo, exec_lo, s24
	s_wait_alu 0xfffe
	s_cbranch_vccz .LBB74_18
; %bb.17:                               ;   in Loop: Header=BB74_16 Depth=3
	v_ashrrev_i32_e32 v14, 31, v25
	v_add_co_u32 v13, vcc_lo, v9, v25
	s_wait_alu 0xfffd
	s_delay_alu instid0(VALU_DEP_2)
	v_add_co_ci_u32_e64 v14, null, v10, v14, vcc_lo
	s_cbranch_execnz .LBB74_15
	s_branch .LBB74_19
.LBB74_18:                              ;   in Loop: Header=BB74_16 Depth=3
                                        ; implicit-def: $vgpr13_vgpr14
.LBB74_19:                              ;   in Loop: Header=BB74_16 Depth=3
	v_add_co_u32 v13, vcc_lo, v23, v11
	s_wait_alu 0xfffd
	v_add_co_ci_u32_e64 v14, null, v24, v12, vcc_lo
	s_branch .LBB74_15
.LBB74_20:                              ;   in Loop: Header=BB74_9 Depth=1
	ds_bpermute_b32 v9, v16, v22
	s_wait_dscnt 0x2
	ds_bpermute_b32 v10, v16, v21
	s_wait_dscnt 0x0
	v_dual_add_f32 v9, v22, v9 :: v_dual_add_f32 v10, v21, v10
	ds_bpermute_b32 v11, v17, v9
	ds_bpermute_b32 v12, v17, v10
	s_wait_dscnt 0x0
	v_dual_add_f32 v9, v9, v11 :: v_dual_add_f32 v10, v10, v12
	ds_bpermute_b32 v11, v18, v9
	;; [unrolled: 4-line block ×3, first 2 shown]
	ds_bpermute_b32 v12, v19, v10
	s_wait_dscnt 0x1
	v_add_f32_e32 v9, v9, v11
	s_wait_dscnt 0x0
	v_add_f32_e32 v11, v10, v12
	ds_bpermute_b32 v10, v20, v9
	ds_bpermute_b32 v12, v20, v11
	s_and_saveexec_b32 s6, s1
	s_cbranch_execz .LBB74_8
; %bb.21:                               ;   in Loop: Header=BB74_9 Depth=1
	s_wait_dscnt 0x0
	v_dual_add_f32 v11, v11, v12 :: v_dual_add_f32 v12, v9, v10
	s_delay_alu instid0(VALU_DEP_1) | instskip(SKIP_1) | instid1(VALU_DEP_2)
	v_mul_f32_e64 v9, v11, -v2
	v_dual_mul_f32 v10, v1, v11 :: v_dual_add_nc_u32 v11, s13, v5
	v_fmac_f32_e32 v9, v1, v12
	s_delay_alu instid0(VALU_DEP_2) | instskip(NEXT) | instid1(VALU_DEP_3)
	v_fmac_f32_e32 v10, v2, v12
	v_ashrrev_i32_e32 v12, 31, v11
	s_and_saveexec_b32 s7, s25
	s_wait_alu 0xfffe
	s_xor_b32 s7, exec_lo, s7
	s_cbranch_execz .LBB74_23
; %bb.22:                               ;   in Loop: Header=BB74_9 Depth=1
	v_lshlrev_b64_e32 v[11:12], 3, v[11:12]
	s_delay_alu instid0(VALU_DEP_1) | instskip(SKIP_1) | instid1(VALU_DEP_2)
	v_add_co_u32 v11, vcc_lo, s4, v11
	s_wait_alu 0xfffd
	v_add_co_ci_u32_e64 v12, null, s5, v12, vcc_lo
	global_store_b64 v[11:12], v[9:10], off
                                        ; implicit-def: $vgpr11
                                        ; implicit-def: $vgpr9
.LBB74_23:                              ;   in Loop: Header=BB74_9 Depth=1
	s_wait_alu 0xfffe
	s_and_not1_saveexec_b32 s7, s7
	s_cbranch_execz .LBB74_8
; %bb.24:                               ;   in Loop: Header=BB74_9 Depth=1
	v_lshlrev_b64_e32 v[11:12], 3, v[11:12]
	s_delay_alu instid0(VALU_DEP_1) | instskip(SKIP_1) | instid1(VALU_DEP_2)
	v_add_co_u32 v11, vcc_lo, s4, v11
	s_wait_alu 0xfffd
	v_add_co_ci_u32_e64 v12, null, s5, v12, vcc_lo
	global_load_b64 v[13:14], v[11:12], off
	s_wait_loadcnt 0x0
	v_fmac_f32_e32 v9, v3, v13
	v_fmac_f32_e32 v10, v4, v13
	s_delay_alu instid0(VALU_DEP_2) | instskip(NEXT) | instid1(VALU_DEP_2)
	v_fma_f32 v9, -v4, v14, v9
	v_fmac_f32_e32 v10, v3, v14
	global_store_b64 v[11:12], v[9:10], off
	s_branch .LBB74_8
.LBB74_25:
	s_endpgm
	.section	.rodata,"a",@progbits
	.p2align	6, 0x0
	.amdhsa_kernel _ZN9rocsparseL22bsrxmvn_general_kernelILj1024ELj32E21rocsparse_complex_numIfEiifS2_S2_EEv20rocsparse_direction_NS_24const_host_device_scalarIT1_EET3_PKS7_PKT2_SC_S9_PKT4_S7_PKT5_S6_PT6_21rocsparse_index_base_b
		.amdhsa_group_segment_fixed_size 0
		.amdhsa_private_segment_fixed_size 0
		.amdhsa_kernarg_size 104
		.amdhsa_user_sgpr_count 2
		.amdhsa_user_sgpr_dispatch_ptr 0
		.amdhsa_user_sgpr_queue_ptr 0
		.amdhsa_user_sgpr_kernarg_segment_ptr 1
		.amdhsa_user_sgpr_dispatch_id 0
		.amdhsa_user_sgpr_private_segment_size 0
		.amdhsa_wavefront_size32 1
		.amdhsa_uses_dynamic_stack 0
		.amdhsa_enable_private_segment 0
		.amdhsa_system_sgpr_workgroup_id_x 1
		.amdhsa_system_sgpr_workgroup_id_y 0
		.amdhsa_system_sgpr_workgroup_id_z 0
		.amdhsa_system_sgpr_workgroup_info 0
		.amdhsa_system_vgpr_workitem_id 0
		.amdhsa_next_free_vgpr 29
		.amdhsa_next_free_sgpr 30
		.amdhsa_reserve_vcc 1
		.amdhsa_float_round_mode_32 0
		.amdhsa_float_round_mode_16_64 0
		.amdhsa_float_denorm_mode_32 3
		.amdhsa_float_denorm_mode_16_64 3
		.amdhsa_fp16_overflow 0
		.amdhsa_workgroup_processor_mode 1
		.amdhsa_memory_ordered 1
		.amdhsa_forward_progress 1
		.amdhsa_inst_pref_size 12
		.amdhsa_round_robin_scheduling 0
		.amdhsa_exception_fp_ieee_invalid_op 0
		.amdhsa_exception_fp_denorm_src 0
		.amdhsa_exception_fp_ieee_div_zero 0
		.amdhsa_exception_fp_ieee_overflow 0
		.amdhsa_exception_fp_ieee_underflow 0
		.amdhsa_exception_fp_ieee_inexact 0
		.amdhsa_exception_int_div_zero 0
	.end_amdhsa_kernel
	.section	.text._ZN9rocsparseL22bsrxmvn_general_kernelILj1024ELj32E21rocsparse_complex_numIfEiifS2_S2_EEv20rocsparse_direction_NS_24const_host_device_scalarIT1_EET3_PKS7_PKT2_SC_S9_PKT4_S7_PKT5_S6_PT6_21rocsparse_index_base_b,"axG",@progbits,_ZN9rocsparseL22bsrxmvn_general_kernelILj1024ELj32E21rocsparse_complex_numIfEiifS2_S2_EEv20rocsparse_direction_NS_24const_host_device_scalarIT1_EET3_PKS7_PKT2_SC_S9_PKT4_S7_PKT5_S6_PT6_21rocsparse_index_base_b,comdat
.Lfunc_end74:
	.size	_ZN9rocsparseL22bsrxmvn_general_kernelILj1024ELj32E21rocsparse_complex_numIfEiifS2_S2_EEv20rocsparse_direction_NS_24const_host_device_scalarIT1_EET3_PKS7_PKT2_SC_S9_PKT4_S7_PKT5_S6_PT6_21rocsparse_index_base_b, .Lfunc_end74-_ZN9rocsparseL22bsrxmvn_general_kernelILj1024ELj32E21rocsparse_complex_numIfEiifS2_S2_EEv20rocsparse_direction_NS_24const_host_device_scalarIT1_EET3_PKS7_PKT2_SC_S9_PKT4_S7_PKT5_S6_PT6_21rocsparse_index_base_b
                                        ; -- End function
	.set _ZN9rocsparseL22bsrxmvn_general_kernelILj1024ELj32E21rocsparse_complex_numIfEiifS2_S2_EEv20rocsparse_direction_NS_24const_host_device_scalarIT1_EET3_PKS7_PKT2_SC_S9_PKT4_S7_PKT5_S6_PT6_21rocsparse_index_base_b.num_vgpr, 29
	.set _ZN9rocsparseL22bsrxmvn_general_kernelILj1024ELj32E21rocsparse_complex_numIfEiifS2_S2_EEv20rocsparse_direction_NS_24const_host_device_scalarIT1_EET3_PKS7_PKT2_SC_S9_PKT4_S7_PKT5_S6_PT6_21rocsparse_index_base_b.num_agpr, 0
	.set _ZN9rocsparseL22bsrxmvn_general_kernelILj1024ELj32E21rocsparse_complex_numIfEiifS2_S2_EEv20rocsparse_direction_NS_24const_host_device_scalarIT1_EET3_PKS7_PKT2_SC_S9_PKT4_S7_PKT5_S6_PT6_21rocsparse_index_base_b.numbered_sgpr, 30
	.set _ZN9rocsparseL22bsrxmvn_general_kernelILj1024ELj32E21rocsparse_complex_numIfEiifS2_S2_EEv20rocsparse_direction_NS_24const_host_device_scalarIT1_EET3_PKS7_PKT2_SC_S9_PKT4_S7_PKT5_S6_PT6_21rocsparse_index_base_b.num_named_barrier, 0
	.set _ZN9rocsparseL22bsrxmvn_general_kernelILj1024ELj32E21rocsparse_complex_numIfEiifS2_S2_EEv20rocsparse_direction_NS_24const_host_device_scalarIT1_EET3_PKS7_PKT2_SC_S9_PKT4_S7_PKT5_S6_PT6_21rocsparse_index_base_b.private_seg_size, 0
	.set _ZN9rocsparseL22bsrxmvn_general_kernelILj1024ELj32E21rocsparse_complex_numIfEiifS2_S2_EEv20rocsparse_direction_NS_24const_host_device_scalarIT1_EET3_PKS7_PKT2_SC_S9_PKT4_S7_PKT5_S6_PT6_21rocsparse_index_base_b.uses_vcc, 1
	.set _ZN9rocsparseL22bsrxmvn_general_kernelILj1024ELj32E21rocsparse_complex_numIfEiifS2_S2_EEv20rocsparse_direction_NS_24const_host_device_scalarIT1_EET3_PKS7_PKT2_SC_S9_PKT4_S7_PKT5_S6_PT6_21rocsparse_index_base_b.uses_flat_scratch, 0
	.set _ZN9rocsparseL22bsrxmvn_general_kernelILj1024ELj32E21rocsparse_complex_numIfEiifS2_S2_EEv20rocsparse_direction_NS_24const_host_device_scalarIT1_EET3_PKS7_PKT2_SC_S9_PKT4_S7_PKT5_S6_PT6_21rocsparse_index_base_b.has_dyn_sized_stack, 0
	.set _ZN9rocsparseL22bsrxmvn_general_kernelILj1024ELj32E21rocsparse_complex_numIfEiifS2_S2_EEv20rocsparse_direction_NS_24const_host_device_scalarIT1_EET3_PKS7_PKT2_SC_S9_PKT4_S7_PKT5_S6_PT6_21rocsparse_index_base_b.has_recursion, 0
	.set _ZN9rocsparseL22bsrxmvn_general_kernelILj1024ELj32E21rocsparse_complex_numIfEiifS2_S2_EEv20rocsparse_direction_NS_24const_host_device_scalarIT1_EET3_PKS7_PKT2_SC_S9_PKT4_S7_PKT5_S6_PT6_21rocsparse_index_base_b.has_indirect_call, 0
	.section	.AMDGPU.csdata,"",@progbits
; Kernel info:
; codeLenInByte = 1508
; TotalNumSgprs: 32
; NumVgprs: 29
; ScratchSize: 0
; MemoryBound: 0
; FloatMode: 240
; IeeeMode: 1
; LDSByteSize: 0 bytes/workgroup (compile time only)
; SGPRBlocks: 0
; VGPRBlocks: 3
; NumSGPRsForWavesPerEU: 32
; NumVGPRsForWavesPerEU: 29
; Occupancy: 16
; WaveLimiterHint : 1
; COMPUTE_PGM_RSRC2:SCRATCH_EN: 0
; COMPUTE_PGM_RSRC2:USER_SGPR: 2
; COMPUTE_PGM_RSRC2:TRAP_HANDLER: 0
; COMPUTE_PGM_RSRC2:TGID_X_EN: 1
; COMPUTE_PGM_RSRC2:TGID_Y_EN: 0
; COMPUTE_PGM_RSRC2:TGID_Z_EN: 0
; COMPUTE_PGM_RSRC2:TIDIG_COMP_CNT: 0
	.section	.text._ZN9rocsparseL22bsrxmvn_general_kernelILj64ELj8E21rocsparse_complex_numIfElifS2_S2_EEv20rocsparse_direction_NS_24const_host_device_scalarIT1_EET3_PKS7_PKT2_SC_S9_PKT4_S7_PKT5_S6_PT6_21rocsparse_index_base_b,"axG",@progbits,_ZN9rocsparseL22bsrxmvn_general_kernelILj64ELj8E21rocsparse_complex_numIfElifS2_S2_EEv20rocsparse_direction_NS_24const_host_device_scalarIT1_EET3_PKS7_PKT2_SC_S9_PKT4_S7_PKT5_S6_PT6_21rocsparse_index_base_b,comdat
	.globl	_ZN9rocsparseL22bsrxmvn_general_kernelILj64ELj8E21rocsparse_complex_numIfElifS2_S2_EEv20rocsparse_direction_NS_24const_host_device_scalarIT1_EET3_PKS7_PKT2_SC_S9_PKT4_S7_PKT5_S6_PT6_21rocsparse_index_base_b ; -- Begin function _ZN9rocsparseL22bsrxmvn_general_kernelILj64ELj8E21rocsparse_complex_numIfElifS2_S2_EEv20rocsparse_direction_NS_24const_host_device_scalarIT1_EET3_PKS7_PKT2_SC_S9_PKT4_S7_PKT5_S6_PT6_21rocsparse_index_base_b
	.p2align	8
	.type	_ZN9rocsparseL22bsrxmvn_general_kernelILj64ELj8E21rocsparse_complex_numIfElifS2_S2_EEv20rocsparse_direction_NS_24const_host_device_scalarIT1_EET3_PKS7_PKT2_SC_S9_PKT4_S7_PKT5_S6_PT6_21rocsparse_index_base_b,@function
_ZN9rocsparseL22bsrxmvn_general_kernelILj64ELj8E21rocsparse_complex_numIfElifS2_S2_EEv20rocsparse_direction_NS_24const_host_device_scalarIT1_EET3_PKS7_PKT2_SC_S9_PKT4_S7_PKT5_S6_PT6_21rocsparse_index_base_b: ; @_ZN9rocsparseL22bsrxmvn_general_kernelILj64ELj8E21rocsparse_complex_numIfElifS2_S2_EEv20rocsparse_direction_NS_24const_host_device_scalarIT1_EET3_PKS7_PKT2_SC_S9_PKT4_S7_PKT5_S6_PT6_21rocsparse_index_base_b
; %bb.0:
	s_clause 0x2
	s_load_b64 s[12:13], s[0:1], 0x60
	s_load_b64 s[2:3], s[0:1], 0x8
	;; [unrolled: 1-line block ×3, first 2 shown]
	s_add_nc_u64 s[6:7], s[0:1], 8
	s_wait_kmcnt 0x0
	s_bitcmp1_b32 s13, 0
	s_cselect_b32 s2, s6, s2
	s_cselect_b32 s3, s7, s3
	s_delay_alu instid0(SALU_CYCLE_1)
	v_dual_mov_b32 v1, s2 :: v_dual_mov_b32 v2, s3
	s_add_nc_u64 s[2:3], s[0:1], 0x50
	s_wait_alu 0xfffe
	s_cselect_b32 s2, s2, s4
	s_cselect_b32 s3, s3, s5
	flat_load_b64 v[1:2], v[1:2]
	s_wait_alu 0xfffe
	v_dual_mov_b32 v3, s2 :: v_dual_mov_b32 v4, s3
	flat_load_b64 v[3:4], v[3:4]
	s_wait_loadcnt_dscnt 0x101
	v_cmp_eq_f32_e32 vcc_lo, 0, v1
	v_cmp_eq_f32_e64 s2, 0, v2
	s_and_b32 s4, vcc_lo, s2
	s_mov_b32 s2, -1
	s_and_saveexec_b32 s3, s4
	s_cbranch_execz .LBB75_2
; %bb.1:
	s_wait_loadcnt_dscnt 0x0
	v_cmp_neq_f32_e32 vcc_lo, 1.0, v3
	v_cmp_neq_f32_e64 s2, 0, v4
	s_wait_alu 0xfffe
	s_or_b32 s2, vcc_lo, s2
	s_wait_alu 0xfffe
	s_or_not1_b32 s2, s2, exec_lo
.LBB75_2:
	s_wait_alu 0xfffe
	s_or_b32 exec_lo, exec_lo, s3
	s_and_saveexec_b32 s3, s2
	s_cbranch_execz .LBB75_25
; %bb.3:
	s_load_b64 s[2:3], s[0:1], 0x18
	s_wait_kmcnt 0x0
	s_cmp_eq_u64 s[2:3], 0
	s_cbranch_scc1 .LBB75_5
; %bb.4:
	s_mov_b32 s4, ttmp9
	s_ashr_i32 s5, ttmp9, 31
	s_delay_alu instid0(SALU_CYCLE_1) | instskip(NEXT) | instid1(SALU_CYCLE_1)
	s_lshl_b64 s[4:5], s[4:5], 2
	s_add_nc_u64 s[2:3], s[2:3], s[4:5]
	s_load_b32 s2, s[2:3], 0x0
	s_wait_kmcnt 0x0
	s_sub_co_i32 s20, s2, s12
	s_branch .LBB75_6
.LBB75_5:
	s_mov_b32 s20, ttmp9
.LBB75_6:
	s_load_b32 s14, s[0:1], 0x40
	v_lshrrev_b32_e32 v5, 3, v0
	s_wait_kmcnt 0x0
	s_delay_alu instid0(VALU_DEP_1)
	v_cmp_gt_i32_e32 vcc_lo, s14, v5
	s_and_b32 exec_lo, exec_lo, vcc_lo
	s_cbranch_execz .LBB75_25
; %bb.7:
	s_clause 0x2
	s_load_b256 s[4:11], s[0:1], 0x20
	s_load_b64 s[16:17], s[0:1], 0x58
	s_load_b64 s[18:19], s[0:1], 0x48
	s_ashr_i32 s21, s20, 31
	v_mbcnt_lo_u32_b32 v6, -1, 0
	s_load_b32 s24, s[0:1], 0x0
	s_lshl_b64 s[0:1], s[20:21], 3
	v_dual_mov_b32 v8, 0 :: v_dual_and_b32 v7, 7, v0
	s_delay_alu instid0(VALU_DEP_2)
	v_xor_b32_e32 v9, 4, v6
	v_xor_b32_e32 v10, 2, v6
	;; [unrolled: 1-line block ×3, first 2 shown]
	s_wait_loadcnt_dscnt 0x0
	v_cmp_eq_f32_e32 vcc_lo, 0, v3
	v_cmp_eq_f32_e64 s2, 0, v4
	v_cmp_gt_i32_e64 s3, 32, v9
	s_mov_b32 s13, 0
	v_mul_lo_u32 v0, s14, v5
	v_mul_lo_u32 v15, s14, v7
	s_mov_b32 s15, s13
	s_wait_alu 0xf1ff
	v_cndmask_b32_e64 v9, v6, v9, s3
	s_wait_kmcnt 0x0
	s_add_nc_u64 s[22:23], s[4:5], s[0:1]
	s_add_nc_u64 s[0:1], s[6:7], s[0:1]
	s_cmp_eq_u64 s[6:7], 0
	s_add_nc_u64 s[6:7], s[22:23], 8
	v_cmp_gt_i32_e64 s3, 32, v10
	s_cselect_b32 s1, s7, s1
	s_cselect_b32 s0, s6, s0
	s_load_b64 s[22:23], s[22:23], 0x0
	s_load_b64 s[26:27], s[0:1], 0x0
	s_cmp_lg_u32 s24, 0
	v_cndmask_b32_e64 v10, v6, v10, s3
	v_cmp_gt_i32_e64 s3, 32, v11
	v_cmp_gt_u32_e64 s0, s14, v7
	v_cmp_eq_u32_e64 s1, 7, v7
	v_lshlrev_b32_e32 v16, 2, v9
	v_lshlrev_b32_e32 v17, 2, v10
	s_wait_alu 0xf1ff
	v_cndmask_b32_e64 v6, v6, v11, s3
	s_mul_u64 s[4:5], s[14:15], s[14:15]
	s_cselect_b32 s15, -1, 0
	s_and_b32 s24, vcc_lo, s2
	s_delay_alu instid0(VALU_DEP_1)
	v_lshlrev_b32_e32 v18, 2, v6
	s_wait_kmcnt 0x0
	s_sub_nc_u64 s[2:3], s[22:23], s[12:13]
	v_cmp_lt_i64_e64 s25, s[22:23], s[26:27]
	s_sub_nc_u64 s[6:7], s[26:27], s[12:13]
	s_mul_i32 s26, s20, s14
	s_wait_alu 0xfffe
	s_mul_u64 s[20:21], s[2:3], s[4:5]
	s_lshl_b32 s27, s14, 3
	s_branch .LBB75_9
.LBB75_8:                               ;   in Loop: Header=BB75_9 Depth=1
	s_wait_alu 0xfffe
	s_or_b32 exec_lo, exec_lo, s22
	v_add_nc_u32_e32 v5, 8, v5
	v_add_nc_u32_e32 v0, s27, v0
	s_delay_alu instid0(VALU_DEP_2) | instskip(SKIP_1) | instid1(SALU_CYCLE_1)
	v_cmp_le_i32_e32 vcc_lo, s14, v5
	s_or_b32 s13, vcc_lo, s13
	s_and_not1_b32 exec_lo, exec_lo, s13
	s_cbranch_execz .LBB75_25
.LBB75_9:                               ; =>This Loop Header: Depth=1
                                        ;     Child Loop BB75_13 Depth 2
                                        ;       Child Loop BB75_16 Depth 3
	v_dual_mov_b32 v19, 0 :: v_dual_mov_b32 v20, 0
	s_and_not1_b32 vcc_lo, exec_lo, s25
	s_wait_alu 0xfffe
	s_cbranch_vccnz .LBB75_20
; %bb.10:                               ;   in Loop: Header=BB75_9 Depth=1
	s_wait_dscnt 0x1
	v_ashrrev_i32_e32 v9, 31, v0
	v_add_co_u32 v21, vcc_lo, s20, v0
	v_ashrrev_i32_e32 v6, 31, v5
	v_dual_mov_b32 v19, 0 :: v_dual_mov_b32 v20, 0
	s_wait_alu 0xfffd
	v_add_co_ci_u32_e64 v22, null, s21, v9, vcc_lo
	s_mov_b64 s[22:23], s[2:3]
	s_branch .LBB75_13
.LBB75_11:                              ;   in Loop: Header=BB75_13 Depth=2
	s_or_b32 exec_lo, exec_lo, s29
.LBB75_12:                              ;   in Loop: Header=BB75_13 Depth=2
	s_delay_alu instid0(SALU_CYCLE_1)
	s_or_b32 exec_lo, exec_lo, s28
	s_wait_alu 0xfffe
	s_add_nc_u64 s[22:23], s[22:23], 1
	v_add_co_u32 v21, vcc_lo, v21, s4
	s_wait_alu 0xfffe
	v_cmp_ge_i64_e64 s28, s[22:23], s[6:7]
	s_wait_alu 0xfffd
	v_add_co_ci_u32_e64 v22, null, s5, v22, vcc_lo
	s_and_b32 vcc_lo, exec_lo, s28
	s_wait_alu 0xfffe
	s_cbranch_vccnz .LBB75_20
.LBB75_13:                              ;   Parent Loop BB75_9 Depth=1
                                        ; =>  This Loop Header: Depth=2
                                        ;       Child Loop BB75_16 Depth 3
	s_and_saveexec_b32 s28, s0
	s_cbranch_execz .LBB75_12
; %bb.14:                               ;   in Loop: Header=BB75_13 Depth=2
	s_wait_alu 0xfffe
	s_lshl_b64 s[30:31], s[22:23], 2
	v_mad_co_u64_u32 v[9:10], null, s4, s22, v[5:6]
	s_wait_alu 0xfffe
	s_add_nc_u64 s[30:31], s[8:9], s[30:31]
	s_wait_dscnt 0x0
	v_dual_mov_b32 v23, v15 :: v_dual_mov_b32 v12, v8
	s_load_b32 s29, s[30:31], 0x0
	s_mul_i32 s30, s5, s22
	s_mul_i32 s31, s4, s23
	v_mov_b32_e32 v11, v7
	s_wait_alu 0xfffe
	v_add3_u32 v10, s31, s30, v10
	s_wait_kmcnt 0x0
	s_sub_co_i32 s29, s29, s12
	s_delay_alu instid0(SALU_CYCLE_1)
	s_mul_i32 s30, s29, s14
	s_mov_b32 s29, 0
	s_branch .LBB75_16
.LBB75_15:                              ;   in Loop: Header=BB75_16 Depth=3
	v_add_nc_u32_e32 v24, s30, v11
	s_delay_alu instid0(VALU_DEP_2) | instskip(SKIP_1) | instid1(VALU_DEP_3)
	v_lshlrev_b64_e32 v[13:14], 2, v[13:14]
	v_add_nc_u32_e32 v23, s27, v23
	v_ashrrev_i32_e32 v25, 31, v24
	s_delay_alu instid0(VALU_DEP_3) | instskip(SKIP_1) | instid1(VALU_DEP_4)
	v_add_co_u32 v13, vcc_lo, s10, v13
	s_wait_alu 0xfffd
	v_add_co_ci_u32_e64 v14, null, s11, v14, vcc_lo
	s_delay_alu instid0(VALU_DEP_3) | instskip(NEXT) | instid1(VALU_DEP_1)
	v_lshlrev_b64_e32 v[24:25], 3, v[24:25]
	v_add_co_u32 v24, vcc_lo, s18, v24
	s_wait_alu 0xfffd
	s_delay_alu instid0(VALU_DEP_2)
	v_add_co_ci_u32_e64 v25, null, s19, v25, vcc_lo
	global_load_b32 v26, v[13:14], off
	global_load_b64 v[13:14], v[24:25], off
	v_add_co_u32 v11, vcc_lo, v11, 8
	s_wait_alu 0xfffd
	v_add_co_ci_u32_e64 v12, null, 0, v12, vcc_lo
	s_delay_alu instid0(VALU_DEP_2) | instskip(SKIP_3) | instid1(VALU_DEP_1)
	v_cmp_le_i32_e32 vcc_lo, s14, v11
	s_or_b32 s29, vcc_lo, s29
	s_wait_loadcnt 0x0
	v_fmac_f32_e32 v20, v26, v13
	v_dual_fmac_f32 v19, 0, v13 :: v_dual_fmac_f32 v20, 0x80000000, v14
	s_delay_alu instid0(VALU_DEP_1)
	v_fmac_f32_e32 v19, v26, v14
	s_and_not1_b32 exec_lo, exec_lo, s29
	s_cbranch_execz .LBB75_11
.LBB75_16:                              ;   Parent Loop BB75_9 Depth=1
                                        ;     Parent Loop BB75_13 Depth=2
                                        ; =>    This Inner Loop Header: Depth=3
	s_and_b32 vcc_lo, exec_lo, s15
	s_wait_alu 0xfffe
	s_cbranch_vccz .LBB75_18
; %bb.17:                               ;   in Loop: Header=BB75_16 Depth=3
	v_ashrrev_i32_e32 v14, 31, v23
	v_add_co_u32 v13, vcc_lo, v9, v23
	s_wait_alu 0xfffd
	s_delay_alu instid0(VALU_DEP_2)
	v_add_co_ci_u32_e64 v14, null, v10, v14, vcc_lo
	s_cbranch_execnz .LBB75_15
	s_branch .LBB75_19
.LBB75_18:                              ;   in Loop: Header=BB75_16 Depth=3
                                        ; implicit-def: $vgpr13_vgpr14
.LBB75_19:                              ;   in Loop: Header=BB75_16 Depth=3
	v_add_co_u32 v13, vcc_lo, v21, v11
	s_wait_alu 0xfffd
	v_add_co_ci_u32_e64 v14, null, v22, v12, vcc_lo
	s_branch .LBB75_15
.LBB75_20:                              ;   in Loop: Header=BB75_9 Depth=1
	ds_bpermute_b32 v6, v16, v20
	s_wait_dscnt 0x2
	ds_bpermute_b32 v9, v16, v19
	s_wait_dscnt 0x0
	v_dual_add_f32 v6, v20, v6 :: v_dual_add_f32 v9, v19, v9
	ds_bpermute_b32 v10, v17, v6
	ds_bpermute_b32 v11, v17, v9
	s_wait_dscnt 0x1
	v_add_f32_e32 v6, v6, v10
	s_wait_dscnt 0x0
	v_add_f32_e32 v10, v9, v11
	ds_bpermute_b32 v9, v18, v6
	ds_bpermute_b32 v11, v18, v10
	s_and_saveexec_b32 s22, s1
	s_cbranch_execz .LBB75_8
; %bb.21:                               ;   in Loop: Header=BB75_9 Depth=1
	s_wait_dscnt 0x0
	v_dual_add_f32 v10, v10, v11 :: v_dual_add_nc_u32 v11, s26, v5
	v_add_f32_e32 v6, v6, v9
	s_delay_alu instid0(VALU_DEP_2) | instskip(SKIP_1) | instid1(VALU_DEP_4)
	v_mul_f32_e64 v9, v10, -v2
	v_mul_f32_e32 v10, v1, v10
	v_ashrrev_i32_e32 v12, 31, v11
	s_delay_alu instid0(VALU_DEP_3) | instskip(NEXT) | instid1(VALU_DEP_3)
	v_fmac_f32_e32 v9, v1, v6
	v_fmac_f32_e32 v10, v2, v6
	s_and_saveexec_b32 s23, s24
	s_wait_alu 0xfffe
	s_xor_b32 s23, exec_lo, s23
	s_cbranch_execz .LBB75_23
; %bb.22:                               ;   in Loop: Header=BB75_9 Depth=1
	v_lshlrev_b64_e32 v[11:12], 3, v[11:12]
	s_delay_alu instid0(VALU_DEP_1) | instskip(SKIP_1) | instid1(VALU_DEP_2)
	v_add_co_u32 v11, vcc_lo, s16, v11
	s_wait_alu 0xfffd
	v_add_co_ci_u32_e64 v12, null, s17, v12, vcc_lo
	global_store_b64 v[11:12], v[9:10], off
                                        ; implicit-def: $vgpr11
                                        ; implicit-def: $vgpr9
.LBB75_23:                              ;   in Loop: Header=BB75_9 Depth=1
	s_wait_alu 0xfffe
	s_and_not1_saveexec_b32 s23, s23
	s_cbranch_execz .LBB75_8
; %bb.24:                               ;   in Loop: Header=BB75_9 Depth=1
	v_lshlrev_b64_e32 v[11:12], 3, v[11:12]
	s_delay_alu instid0(VALU_DEP_1) | instskip(SKIP_1) | instid1(VALU_DEP_2)
	v_add_co_u32 v11, vcc_lo, s16, v11
	s_wait_alu 0xfffd
	v_add_co_ci_u32_e64 v12, null, s17, v12, vcc_lo
	global_load_b64 v[13:14], v[11:12], off
	s_wait_loadcnt 0x0
	v_fmac_f32_e32 v9, v3, v13
	v_fmac_f32_e32 v10, v4, v13
	s_delay_alu instid0(VALU_DEP_2) | instskip(NEXT) | instid1(VALU_DEP_2)
	v_fma_f32 v9, -v4, v14, v9
	v_fmac_f32_e32 v10, v3, v14
	global_store_b64 v[11:12], v[9:10], off
	s_branch .LBB75_8
.LBB75_25:
	s_endpgm
	.section	.rodata,"a",@progbits
	.p2align	6, 0x0
	.amdhsa_kernel _ZN9rocsparseL22bsrxmvn_general_kernelILj64ELj8E21rocsparse_complex_numIfElifS2_S2_EEv20rocsparse_direction_NS_24const_host_device_scalarIT1_EET3_PKS7_PKT2_SC_S9_PKT4_S7_PKT5_S6_PT6_21rocsparse_index_base_b
		.amdhsa_group_segment_fixed_size 0
		.amdhsa_private_segment_fixed_size 0
		.amdhsa_kernarg_size 104
		.amdhsa_user_sgpr_count 2
		.amdhsa_user_sgpr_dispatch_ptr 0
		.amdhsa_user_sgpr_queue_ptr 0
		.amdhsa_user_sgpr_kernarg_segment_ptr 1
		.amdhsa_user_sgpr_dispatch_id 0
		.amdhsa_user_sgpr_private_segment_size 0
		.amdhsa_wavefront_size32 1
		.amdhsa_uses_dynamic_stack 0
		.amdhsa_enable_private_segment 0
		.amdhsa_system_sgpr_workgroup_id_x 1
		.amdhsa_system_sgpr_workgroup_id_y 0
		.amdhsa_system_sgpr_workgroup_id_z 0
		.amdhsa_system_sgpr_workgroup_info 0
		.amdhsa_system_vgpr_workitem_id 0
		.amdhsa_next_free_vgpr 27
		.amdhsa_next_free_sgpr 32
		.amdhsa_reserve_vcc 1
		.amdhsa_float_round_mode_32 0
		.amdhsa_float_round_mode_16_64 0
		.amdhsa_float_denorm_mode_32 3
		.amdhsa_float_denorm_mode_16_64 3
		.amdhsa_fp16_overflow 0
		.amdhsa_workgroup_processor_mode 1
		.amdhsa_memory_ordered 1
		.amdhsa_forward_progress 1
		.amdhsa_inst_pref_size 11
		.amdhsa_round_robin_scheduling 0
		.amdhsa_exception_fp_ieee_invalid_op 0
		.amdhsa_exception_fp_denorm_src 0
		.amdhsa_exception_fp_ieee_div_zero 0
		.amdhsa_exception_fp_ieee_overflow 0
		.amdhsa_exception_fp_ieee_underflow 0
		.amdhsa_exception_fp_ieee_inexact 0
		.amdhsa_exception_int_div_zero 0
	.end_amdhsa_kernel
	.section	.text._ZN9rocsparseL22bsrxmvn_general_kernelILj64ELj8E21rocsparse_complex_numIfElifS2_S2_EEv20rocsparse_direction_NS_24const_host_device_scalarIT1_EET3_PKS7_PKT2_SC_S9_PKT4_S7_PKT5_S6_PT6_21rocsparse_index_base_b,"axG",@progbits,_ZN9rocsparseL22bsrxmvn_general_kernelILj64ELj8E21rocsparse_complex_numIfElifS2_S2_EEv20rocsparse_direction_NS_24const_host_device_scalarIT1_EET3_PKS7_PKT2_SC_S9_PKT4_S7_PKT5_S6_PT6_21rocsparse_index_base_b,comdat
.Lfunc_end75:
	.size	_ZN9rocsparseL22bsrxmvn_general_kernelILj64ELj8E21rocsparse_complex_numIfElifS2_S2_EEv20rocsparse_direction_NS_24const_host_device_scalarIT1_EET3_PKS7_PKT2_SC_S9_PKT4_S7_PKT5_S6_PT6_21rocsparse_index_base_b, .Lfunc_end75-_ZN9rocsparseL22bsrxmvn_general_kernelILj64ELj8E21rocsparse_complex_numIfElifS2_S2_EEv20rocsparse_direction_NS_24const_host_device_scalarIT1_EET3_PKS7_PKT2_SC_S9_PKT4_S7_PKT5_S6_PT6_21rocsparse_index_base_b
                                        ; -- End function
	.set _ZN9rocsparseL22bsrxmvn_general_kernelILj64ELj8E21rocsparse_complex_numIfElifS2_S2_EEv20rocsparse_direction_NS_24const_host_device_scalarIT1_EET3_PKS7_PKT2_SC_S9_PKT4_S7_PKT5_S6_PT6_21rocsparse_index_base_b.num_vgpr, 27
	.set _ZN9rocsparseL22bsrxmvn_general_kernelILj64ELj8E21rocsparse_complex_numIfElifS2_S2_EEv20rocsparse_direction_NS_24const_host_device_scalarIT1_EET3_PKS7_PKT2_SC_S9_PKT4_S7_PKT5_S6_PT6_21rocsparse_index_base_b.num_agpr, 0
	.set _ZN9rocsparseL22bsrxmvn_general_kernelILj64ELj8E21rocsparse_complex_numIfElifS2_S2_EEv20rocsparse_direction_NS_24const_host_device_scalarIT1_EET3_PKS7_PKT2_SC_S9_PKT4_S7_PKT5_S6_PT6_21rocsparse_index_base_b.numbered_sgpr, 32
	.set _ZN9rocsparseL22bsrxmvn_general_kernelILj64ELj8E21rocsparse_complex_numIfElifS2_S2_EEv20rocsparse_direction_NS_24const_host_device_scalarIT1_EET3_PKS7_PKT2_SC_S9_PKT4_S7_PKT5_S6_PT6_21rocsparse_index_base_b.num_named_barrier, 0
	.set _ZN9rocsparseL22bsrxmvn_general_kernelILj64ELj8E21rocsparse_complex_numIfElifS2_S2_EEv20rocsparse_direction_NS_24const_host_device_scalarIT1_EET3_PKS7_PKT2_SC_S9_PKT4_S7_PKT5_S6_PT6_21rocsparse_index_base_b.private_seg_size, 0
	.set _ZN9rocsparseL22bsrxmvn_general_kernelILj64ELj8E21rocsparse_complex_numIfElifS2_S2_EEv20rocsparse_direction_NS_24const_host_device_scalarIT1_EET3_PKS7_PKT2_SC_S9_PKT4_S7_PKT5_S6_PT6_21rocsparse_index_base_b.uses_vcc, 1
	.set _ZN9rocsparseL22bsrxmvn_general_kernelILj64ELj8E21rocsparse_complex_numIfElifS2_S2_EEv20rocsparse_direction_NS_24const_host_device_scalarIT1_EET3_PKS7_PKT2_SC_S9_PKT4_S7_PKT5_S6_PT6_21rocsparse_index_base_b.uses_flat_scratch, 0
	.set _ZN9rocsparseL22bsrxmvn_general_kernelILj64ELj8E21rocsparse_complex_numIfElifS2_S2_EEv20rocsparse_direction_NS_24const_host_device_scalarIT1_EET3_PKS7_PKT2_SC_S9_PKT4_S7_PKT5_S6_PT6_21rocsparse_index_base_b.has_dyn_sized_stack, 0
	.set _ZN9rocsparseL22bsrxmvn_general_kernelILj64ELj8E21rocsparse_complex_numIfElifS2_S2_EEv20rocsparse_direction_NS_24const_host_device_scalarIT1_EET3_PKS7_PKT2_SC_S9_PKT4_S7_PKT5_S6_PT6_21rocsparse_index_base_b.has_recursion, 0
	.set _ZN9rocsparseL22bsrxmvn_general_kernelILj64ELj8E21rocsparse_complex_numIfElifS2_S2_EEv20rocsparse_direction_NS_24const_host_device_scalarIT1_EET3_PKS7_PKT2_SC_S9_PKT4_S7_PKT5_S6_PT6_21rocsparse_index_base_b.has_indirect_call, 0
	.section	.AMDGPU.csdata,"",@progbits
; Kernel info:
; codeLenInByte = 1396
; TotalNumSgprs: 34
; NumVgprs: 27
; ScratchSize: 0
; MemoryBound: 0
; FloatMode: 240
; IeeeMode: 1
; LDSByteSize: 0 bytes/workgroup (compile time only)
; SGPRBlocks: 0
; VGPRBlocks: 3
; NumSGPRsForWavesPerEU: 34
; NumVGPRsForWavesPerEU: 27
; Occupancy: 16
; WaveLimiterHint : 1
; COMPUTE_PGM_RSRC2:SCRATCH_EN: 0
; COMPUTE_PGM_RSRC2:USER_SGPR: 2
; COMPUTE_PGM_RSRC2:TRAP_HANDLER: 0
; COMPUTE_PGM_RSRC2:TGID_X_EN: 1
; COMPUTE_PGM_RSRC2:TGID_Y_EN: 0
; COMPUTE_PGM_RSRC2:TGID_Z_EN: 0
; COMPUTE_PGM_RSRC2:TIDIG_COMP_CNT: 0
	.section	.text._ZN9rocsparseL22bsrxmvn_general_kernelILj256ELj16E21rocsparse_complex_numIfElifS2_S2_EEv20rocsparse_direction_NS_24const_host_device_scalarIT1_EET3_PKS7_PKT2_SC_S9_PKT4_S7_PKT5_S6_PT6_21rocsparse_index_base_b,"axG",@progbits,_ZN9rocsparseL22bsrxmvn_general_kernelILj256ELj16E21rocsparse_complex_numIfElifS2_S2_EEv20rocsparse_direction_NS_24const_host_device_scalarIT1_EET3_PKS7_PKT2_SC_S9_PKT4_S7_PKT5_S6_PT6_21rocsparse_index_base_b,comdat
	.globl	_ZN9rocsparseL22bsrxmvn_general_kernelILj256ELj16E21rocsparse_complex_numIfElifS2_S2_EEv20rocsparse_direction_NS_24const_host_device_scalarIT1_EET3_PKS7_PKT2_SC_S9_PKT4_S7_PKT5_S6_PT6_21rocsparse_index_base_b ; -- Begin function _ZN9rocsparseL22bsrxmvn_general_kernelILj256ELj16E21rocsparse_complex_numIfElifS2_S2_EEv20rocsparse_direction_NS_24const_host_device_scalarIT1_EET3_PKS7_PKT2_SC_S9_PKT4_S7_PKT5_S6_PT6_21rocsparse_index_base_b
	.p2align	8
	.type	_ZN9rocsparseL22bsrxmvn_general_kernelILj256ELj16E21rocsparse_complex_numIfElifS2_S2_EEv20rocsparse_direction_NS_24const_host_device_scalarIT1_EET3_PKS7_PKT2_SC_S9_PKT4_S7_PKT5_S6_PT6_21rocsparse_index_base_b,@function
_ZN9rocsparseL22bsrxmvn_general_kernelILj256ELj16E21rocsparse_complex_numIfElifS2_S2_EEv20rocsparse_direction_NS_24const_host_device_scalarIT1_EET3_PKS7_PKT2_SC_S9_PKT4_S7_PKT5_S6_PT6_21rocsparse_index_base_b: ; @_ZN9rocsparseL22bsrxmvn_general_kernelILj256ELj16E21rocsparse_complex_numIfElifS2_S2_EEv20rocsparse_direction_NS_24const_host_device_scalarIT1_EET3_PKS7_PKT2_SC_S9_PKT4_S7_PKT5_S6_PT6_21rocsparse_index_base_b
; %bb.0:
	s_clause 0x2
	s_load_b64 s[12:13], s[0:1], 0x60
	s_load_b64 s[2:3], s[0:1], 0x8
	s_load_b64 s[4:5], s[0:1], 0x50
	s_add_nc_u64 s[6:7], s[0:1], 8
	s_wait_kmcnt 0x0
	s_bitcmp1_b32 s13, 0
	s_cselect_b32 s2, s6, s2
	s_cselect_b32 s3, s7, s3
	s_delay_alu instid0(SALU_CYCLE_1)
	v_dual_mov_b32 v1, s2 :: v_dual_mov_b32 v2, s3
	s_add_nc_u64 s[2:3], s[0:1], 0x50
	s_wait_alu 0xfffe
	s_cselect_b32 s2, s2, s4
	s_cselect_b32 s3, s3, s5
	flat_load_b64 v[1:2], v[1:2]
	s_wait_alu 0xfffe
	v_dual_mov_b32 v3, s2 :: v_dual_mov_b32 v4, s3
	flat_load_b64 v[3:4], v[3:4]
	s_wait_loadcnt_dscnt 0x101
	v_cmp_eq_f32_e32 vcc_lo, 0, v1
	v_cmp_eq_f32_e64 s2, 0, v2
	s_and_b32 s4, vcc_lo, s2
	s_mov_b32 s2, -1
	s_and_saveexec_b32 s3, s4
	s_cbranch_execz .LBB76_2
; %bb.1:
	s_wait_loadcnt_dscnt 0x0
	v_cmp_neq_f32_e32 vcc_lo, 1.0, v3
	v_cmp_neq_f32_e64 s2, 0, v4
	s_wait_alu 0xfffe
	s_or_b32 s2, vcc_lo, s2
	s_wait_alu 0xfffe
	s_or_not1_b32 s2, s2, exec_lo
.LBB76_2:
	s_wait_alu 0xfffe
	s_or_b32 exec_lo, exec_lo, s3
	s_and_saveexec_b32 s3, s2
	s_cbranch_execz .LBB76_25
; %bb.3:
	s_load_b64 s[2:3], s[0:1], 0x18
	s_wait_kmcnt 0x0
	s_cmp_eq_u64 s[2:3], 0
	s_cbranch_scc1 .LBB76_5
; %bb.4:
	s_mov_b32 s4, ttmp9
	s_ashr_i32 s5, ttmp9, 31
	s_delay_alu instid0(SALU_CYCLE_1) | instskip(NEXT) | instid1(SALU_CYCLE_1)
	s_lshl_b64 s[4:5], s[4:5], 2
	s_add_nc_u64 s[2:3], s[2:3], s[4:5]
	s_load_b32 s2, s[2:3], 0x0
	s_wait_kmcnt 0x0
	s_sub_co_i32 s22, s2, s12
	s_branch .LBB76_6
.LBB76_5:
	s_mov_b32 s22, ttmp9
.LBB76_6:
	s_load_b32 s14, s[0:1], 0x40
	v_lshrrev_b32_e32 v5, 4, v0
	s_wait_kmcnt 0x0
	s_delay_alu instid0(VALU_DEP_1)
	v_cmp_gt_i32_e32 vcc_lo, s14, v5
	s_and_b32 exec_lo, exec_lo, vcc_lo
	s_cbranch_execz .LBB76_25
; %bb.7:
	s_clause 0x2
	s_load_b256 s[4:11], s[0:1], 0x20
	s_load_b64 s[16:17], s[0:1], 0x58
	s_load_b64 s[18:19], s[0:1], 0x48
	v_mbcnt_lo_u32_b32 v6, -1, 0
	s_ashr_i32 s23, s22, 31
	s_load_b32 s28, s[0:1], 0x0
	s_lshl_b64 s[24:25], s[22:23], 3
	v_dual_mov_b32 v8, 0 :: v_dual_and_b32 v7, 15, v0
	v_xor_b32_e32 v9, 8, v6
	v_xor_b32_e32 v10, 4, v6
	;; [unrolled: 1-line block ×4, first 2 shown]
	s_wait_loadcnt_dscnt 0x0
	v_cmp_eq_f32_e32 vcc_lo, 0, v3
	v_cmp_gt_i32_e64 s3, 32, v9
	v_cmp_eq_f32_e64 s2, 0, v4
	s_mov_b32 s13, 0
	v_mul_lo_u32 v0, s14, v5
	v_mul_lo_u32 v15, s14, v7
	s_wait_alu 0xf1ff
	v_cndmask_b32_e64 v9, v6, v9, s3
	s_wait_kmcnt 0x0
	s_add_nc_u64 s[4:5], s[4:5], s[24:25]
	s_add_nc_u64 s[24:25], s[6:7], s[24:25]
	s_cmp_eq_u64 s[6:7], 0
	s_add_nc_u64 s[6:7], s[4:5], 8
	v_cmp_gt_i32_e64 s3, 32, v10
	s_cselect_b32 s7, s7, s25
	s_cselect_b32 s6, s6, s24
	s_load_b64 s[26:27], s[4:5], 0x0
	s_load_b64 s[6:7], s[6:7], 0x0
	s_mov_b32 s15, s13
	v_cndmask_b32_e64 v10, v6, v10, s3
	v_cmp_gt_i32_e64 s3, 32, v11
	s_cmp_lg_u32 s28, 0
	v_cmp_gt_u32_e64 s0, s14, v7
	v_cmp_eq_u32_e64 s1, 15, v7
	v_lshlrev_b32_e32 v16, 2, v9
	s_wait_alu 0xf1ff
	v_cndmask_b32_e64 v11, v6, v11, s3
	v_cmp_gt_i32_e64 s3, 32, v12
	v_lshlrev_b32_e32 v17, 2, v10
	s_wait_alu 0xfffe
	s_mul_u64 s[20:21], s[14:15], s[14:15]
	s_cselect_b32 s15, -1, 0
	v_lshlrev_b32_e32 v18, 2, v11
	v_cndmask_b32_e64 v6, v6, v12, s3
	s_and_b32 s24, vcc_lo, s2
	s_delay_alu instid0(VALU_DEP_1)
	v_lshlrev_b32_e32 v19, 2, v6
	s_wait_kmcnt 0x0
	v_cmp_lt_i64_e64 s25, s[26:27], s[6:7]
	s_sub_nc_u64 s[2:3], s[26:27], s[12:13]
	s_sub_nc_u64 s[4:5], s[6:7], s[12:13]
	s_mul_i32 s26, s22, s14
	s_wait_alu 0xfffe
	s_mul_u64 s[6:7], s[2:3], s[20:21]
	s_lshl_b32 s27, s14, 4
	s_branch .LBB76_9
.LBB76_8:                               ;   in Loop: Header=BB76_9 Depth=1
	s_wait_alu 0xfffe
	s_or_b32 exec_lo, exec_lo, s22
	v_add_nc_u32_e32 v5, 16, v5
	v_add_nc_u32_e32 v0, s27, v0
	s_delay_alu instid0(VALU_DEP_2) | instskip(SKIP_1) | instid1(SALU_CYCLE_1)
	v_cmp_le_i32_e32 vcc_lo, s14, v5
	s_or_b32 s13, vcc_lo, s13
	s_and_not1_b32 exec_lo, exec_lo, s13
	s_cbranch_execz .LBB76_25
.LBB76_9:                               ; =>This Loop Header: Depth=1
                                        ;     Child Loop BB76_13 Depth 2
                                        ;       Child Loop BB76_16 Depth 3
	v_dual_mov_b32 v20, 0 :: v_dual_mov_b32 v21, 0
	s_and_not1_b32 vcc_lo, exec_lo, s25
	s_wait_alu 0xfffe
	s_cbranch_vccnz .LBB76_20
; %bb.10:                               ;   in Loop: Header=BB76_9 Depth=1
	s_wait_dscnt 0x1
	v_ashrrev_i32_e32 v9, 31, v0
	v_add_co_u32 v22, vcc_lo, s6, v0
	v_ashrrev_i32_e32 v6, 31, v5
	v_dual_mov_b32 v20, 0 :: v_dual_mov_b32 v21, 0
	s_wait_alu 0xfffd
	v_add_co_ci_u32_e64 v23, null, s7, v9, vcc_lo
	s_mov_b64 s[22:23], s[2:3]
	s_branch .LBB76_13
.LBB76_11:                              ;   in Loop: Header=BB76_13 Depth=2
	s_or_b32 exec_lo, exec_lo, s29
.LBB76_12:                              ;   in Loop: Header=BB76_13 Depth=2
	s_delay_alu instid0(SALU_CYCLE_1)
	s_or_b32 exec_lo, exec_lo, s28
	s_wait_alu 0xfffe
	s_add_nc_u64 s[22:23], s[22:23], 1
	v_add_co_u32 v22, vcc_lo, v22, s20
	s_wait_alu 0xfffe
	v_cmp_ge_i64_e64 s28, s[22:23], s[4:5]
	s_wait_alu 0xfffd
	v_add_co_ci_u32_e64 v23, null, s21, v23, vcc_lo
	s_and_b32 vcc_lo, exec_lo, s28
	s_wait_alu 0xfffe
	s_cbranch_vccnz .LBB76_20
.LBB76_13:                              ;   Parent Loop BB76_9 Depth=1
                                        ; =>  This Loop Header: Depth=2
                                        ;       Child Loop BB76_16 Depth 3
	s_and_saveexec_b32 s28, s0
	s_cbranch_execz .LBB76_12
; %bb.14:                               ;   in Loop: Header=BB76_13 Depth=2
	s_wait_alu 0xfffe
	s_lshl_b64 s[30:31], s[22:23], 2
	v_mad_co_u64_u32 v[9:10], null, s20, s22, v[5:6]
	s_wait_alu 0xfffe
	s_add_nc_u64 s[30:31], s[8:9], s[30:31]
	s_wait_dscnt 0x0
	v_mov_b32_e32 v12, v8
	s_load_b32 s29, s[30:31], 0x0
	s_mul_i32 s30, s21, s22
	s_mul_i32 s31, s20, s23
	v_dual_mov_b32 v24, v15 :: v_dual_mov_b32 v11, v7
	s_wait_alu 0xfffe
	v_add3_u32 v10, s31, s30, v10
	s_wait_kmcnt 0x0
	s_sub_co_i32 s29, s29, s12
	s_delay_alu instid0(SALU_CYCLE_1)
	s_mul_i32 s30, s29, s14
	s_mov_b32 s29, 0
	s_branch .LBB76_16
.LBB76_15:                              ;   in Loop: Header=BB76_16 Depth=3
	v_add_nc_u32_e32 v25, s30, v11
	s_delay_alu instid0(VALU_DEP_2) | instskip(SKIP_1) | instid1(VALU_DEP_3)
	v_lshlrev_b64_e32 v[13:14], 2, v[13:14]
	v_add_nc_u32_e32 v24, s27, v24
	v_ashrrev_i32_e32 v26, 31, v25
	s_delay_alu instid0(VALU_DEP_3) | instskip(SKIP_1) | instid1(VALU_DEP_4)
	v_add_co_u32 v13, vcc_lo, s10, v13
	s_wait_alu 0xfffd
	v_add_co_ci_u32_e64 v14, null, s11, v14, vcc_lo
	s_delay_alu instid0(VALU_DEP_3) | instskip(NEXT) | instid1(VALU_DEP_1)
	v_lshlrev_b64_e32 v[25:26], 3, v[25:26]
	v_add_co_u32 v25, vcc_lo, s18, v25
	s_wait_alu 0xfffd
	s_delay_alu instid0(VALU_DEP_2)
	v_add_co_ci_u32_e64 v26, null, s19, v26, vcc_lo
	global_load_b32 v27, v[13:14], off
	global_load_b64 v[13:14], v[25:26], off
	v_add_co_u32 v11, vcc_lo, v11, 16
	s_wait_alu 0xfffd
	v_add_co_ci_u32_e64 v12, null, 0, v12, vcc_lo
	s_delay_alu instid0(VALU_DEP_2) | instskip(SKIP_3) | instid1(VALU_DEP_1)
	v_cmp_le_i32_e32 vcc_lo, s14, v11
	s_or_b32 s29, vcc_lo, s29
	s_wait_loadcnt 0x0
	v_fmac_f32_e32 v21, v27, v13
	v_dual_fmac_f32 v20, 0, v13 :: v_dual_fmac_f32 v21, 0x80000000, v14
	s_delay_alu instid0(VALU_DEP_1)
	v_fmac_f32_e32 v20, v27, v14
	s_and_not1_b32 exec_lo, exec_lo, s29
	s_cbranch_execz .LBB76_11
.LBB76_16:                              ;   Parent Loop BB76_9 Depth=1
                                        ;     Parent Loop BB76_13 Depth=2
                                        ; =>    This Inner Loop Header: Depth=3
	s_and_b32 vcc_lo, exec_lo, s15
	s_wait_alu 0xfffe
	s_cbranch_vccz .LBB76_18
; %bb.17:                               ;   in Loop: Header=BB76_16 Depth=3
	v_ashrrev_i32_e32 v14, 31, v24
	v_add_co_u32 v13, vcc_lo, v9, v24
	s_wait_alu 0xfffd
	s_delay_alu instid0(VALU_DEP_2)
	v_add_co_ci_u32_e64 v14, null, v10, v14, vcc_lo
	s_cbranch_execnz .LBB76_15
	s_branch .LBB76_19
.LBB76_18:                              ;   in Loop: Header=BB76_16 Depth=3
                                        ; implicit-def: $vgpr13_vgpr14
.LBB76_19:                              ;   in Loop: Header=BB76_16 Depth=3
	v_add_co_u32 v13, vcc_lo, v22, v11
	s_wait_alu 0xfffd
	v_add_co_ci_u32_e64 v14, null, v23, v12, vcc_lo
	s_branch .LBB76_15
.LBB76_20:                              ;   in Loop: Header=BB76_9 Depth=1
	ds_bpermute_b32 v6, v16, v21
	s_wait_dscnt 0x2
	ds_bpermute_b32 v9, v16, v20
	s_wait_dscnt 0x0
	v_dual_add_f32 v6, v21, v6 :: v_dual_add_f32 v9, v20, v9
	ds_bpermute_b32 v10, v17, v6
	ds_bpermute_b32 v11, v17, v9
	s_wait_dscnt 0x0
	v_dual_add_f32 v6, v6, v10 :: v_dual_add_f32 v9, v9, v11
	ds_bpermute_b32 v10, v18, v6
	ds_bpermute_b32 v11, v18, v9
	s_wait_dscnt 0x1
	v_add_f32_e32 v6, v6, v10
	s_wait_dscnt 0x0
	v_add_f32_e32 v10, v9, v11
	ds_bpermute_b32 v9, v19, v6
	ds_bpermute_b32 v11, v19, v10
	s_and_saveexec_b32 s22, s1
	s_cbranch_execz .LBB76_8
; %bb.21:                               ;   in Loop: Header=BB76_9 Depth=1
	s_wait_dscnt 0x0
	v_dual_add_f32 v10, v10, v11 :: v_dual_add_nc_u32 v11, s26, v5
	v_add_f32_e32 v6, v6, v9
	s_delay_alu instid0(VALU_DEP_2) | instskip(SKIP_1) | instid1(VALU_DEP_4)
	v_mul_f32_e64 v9, v10, -v2
	v_mul_f32_e32 v10, v1, v10
	v_ashrrev_i32_e32 v12, 31, v11
	s_delay_alu instid0(VALU_DEP_3) | instskip(NEXT) | instid1(VALU_DEP_3)
	v_fmac_f32_e32 v9, v1, v6
	v_fmac_f32_e32 v10, v2, v6
	s_and_saveexec_b32 s23, s24
	s_wait_alu 0xfffe
	s_xor_b32 s23, exec_lo, s23
	s_cbranch_execz .LBB76_23
; %bb.22:                               ;   in Loop: Header=BB76_9 Depth=1
	v_lshlrev_b64_e32 v[11:12], 3, v[11:12]
	s_delay_alu instid0(VALU_DEP_1) | instskip(SKIP_1) | instid1(VALU_DEP_2)
	v_add_co_u32 v11, vcc_lo, s16, v11
	s_wait_alu 0xfffd
	v_add_co_ci_u32_e64 v12, null, s17, v12, vcc_lo
	global_store_b64 v[11:12], v[9:10], off
                                        ; implicit-def: $vgpr11
                                        ; implicit-def: $vgpr9
.LBB76_23:                              ;   in Loop: Header=BB76_9 Depth=1
	s_wait_alu 0xfffe
	s_and_not1_saveexec_b32 s23, s23
	s_cbranch_execz .LBB76_8
; %bb.24:                               ;   in Loop: Header=BB76_9 Depth=1
	v_lshlrev_b64_e32 v[11:12], 3, v[11:12]
	s_delay_alu instid0(VALU_DEP_1) | instskip(SKIP_1) | instid1(VALU_DEP_2)
	v_add_co_u32 v11, vcc_lo, s16, v11
	s_wait_alu 0xfffd
	v_add_co_ci_u32_e64 v12, null, s17, v12, vcc_lo
	global_load_b64 v[13:14], v[11:12], off
	s_wait_loadcnt 0x0
	v_fmac_f32_e32 v9, v3, v13
	v_fmac_f32_e32 v10, v4, v13
	s_delay_alu instid0(VALU_DEP_2) | instskip(NEXT) | instid1(VALU_DEP_2)
	v_fma_f32 v9, -v4, v14, v9
	v_fmac_f32_e32 v10, v3, v14
	global_store_b64 v[11:12], v[9:10], off
	s_branch .LBB76_8
.LBB76_25:
	s_endpgm
	.section	.rodata,"a",@progbits
	.p2align	6, 0x0
	.amdhsa_kernel _ZN9rocsparseL22bsrxmvn_general_kernelILj256ELj16E21rocsparse_complex_numIfElifS2_S2_EEv20rocsparse_direction_NS_24const_host_device_scalarIT1_EET3_PKS7_PKT2_SC_S9_PKT4_S7_PKT5_S6_PT6_21rocsparse_index_base_b
		.amdhsa_group_segment_fixed_size 0
		.amdhsa_private_segment_fixed_size 0
		.amdhsa_kernarg_size 104
		.amdhsa_user_sgpr_count 2
		.amdhsa_user_sgpr_dispatch_ptr 0
		.amdhsa_user_sgpr_queue_ptr 0
		.amdhsa_user_sgpr_kernarg_segment_ptr 1
		.amdhsa_user_sgpr_dispatch_id 0
		.amdhsa_user_sgpr_private_segment_size 0
		.amdhsa_wavefront_size32 1
		.amdhsa_uses_dynamic_stack 0
		.amdhsa_enable_private_segment 0
		.amdhsa_system_sgpr_workgroup_id_x 1
		.amdhsa_system_sgpr_workgroup_id_y 0
		.amdhsa_system_sgpr_workgroup_id_z 0
		.amdhsa_system_sgpr_workgroup_info 0
		.amdhsa_system_vgpr_workitem_id 0
		.amdhsa_next_free_vgpr 28
		.amdhsa_next_free_sgpr 32
		.amdhsa_reserve_vcc 1
		.amdhsa_float_round_mode_32 0
		.amdhsa_float_round_mode_16_64 0
		.amdhsa_float_denorm_mode_32 3
		.amdhsa_float_denorm_mode_16_64 3
		.amdhsa_fp16_overflow 0
		.amdhsa_workgroup_processor_mode 1
		.amdhsa_memory_ordered 1
		.amdhsa_forward_progress 1
		.amdhsa_inst_pref_size 12
		.amdhsa_round_robin_scheduling 0
		.amdhsa_exception_fp_ieee_invalid_op 0
		.amdhsa_exception_fp_denorm_src 0
		.amdhsa_exception_fp_ieee_div_zero 0
		.amdhsa_exception_fp_ieee_overflow 0
		.amdhsa_exception_fp_ieee_underflow 0
		.amdhsa_exception_fp_ieee_inexact 0
		.amdhsa_exception_int_div_zero 0
	.end_amdhsa_kernel
	.section	.text._ZN9rocsparseL22bsrxmvn_general_kernelILj256ELj16E21rocsparse_complex_numIfElifS2_S2_EEv20rocsparse_direction_NS_24const_host_device_scalarIT1_EET3_PKS7_PKT2_SC_S9_PKT4_S7_PKT5_S6_PT6_21rocsparse_index_base_b,"axG",@progbits,_ZN9rocsparseL22bsrxmvn_general_kernelILj256ELj16E21rocsparse_complex_numIfElifS2_S2_EEv20rocsparse_direction_NS_24const_host_device_scalarIT1_EET3_PKS7_PKT2_SC_S9_PKT4_S7_PKT5_S6_PT6_21rocsparse_index_base_b,comdat
.Lfunc_end76:
	.size	_ZN9rocsparseL22bsrxmvn_general_kernelILj256ELj16E21rocsparse_complex_numIfElifS2_S2_EEv20rocsparse_direction_NS_24const_host_device_scalarIT1_EET3_PKS7_PKT2_SC_S9_PKT4_S7_PKT5_S6_PT6_21rocsparse_index_base_b, .Lfunc_end76-_ZN9rocsparseL22bsrxmvn_general_kernelILj256ELj16E21rocsparse_complex_numIfElifS2_S2_EEv20rocsparse_direction_NS_24const_host_device_scalarIT1_EET3_PKS7_PKT2_SC_S9_PKT4_S7_PKT5_S6_PT6_21rocsparse_index_base_b
                                        ; -- End function
	.set _ZN9rocsparseL22bsrxmvn_general_kernelILj256ELj16E21rocsparse_complex_numIfElifS2_S2_EEv20rocsparse_direction_NS_24const_host_device_scalarIT1_EET3_PKS7_PKT2_SC_S9_PKT4_S7_PKT5_S6_PT6_21rocsparse_index_base_b.num_vgpr, 28
	.set _ZN9rocsparseL22bsrxmvn_general_kernelILj256ELj16E21rocsparse_complex_numIfElifS2_S2_EEv20rocsparse_direction_NS_24const_host_device_scalarIT1_EET3_PKS7_PKT2_SC_S9_PKT4_S7_PKT5_S6_PT6_21rocsparse_index_base_b.num_agpr, 0
	.set _ZN9rocsparseL22bsrxmvn_general_kernelILj256ELj16E21rocsparse_complex_numIfElifS2_S2_EEv20rocsparse_direction_NS_24const_host_device_scalarIT1_EET3_PKS7_PKT2_SC_S9_PKT4_S7_PKT5_S6_PT6_21rocsparse_index_base_b.numbered_sgpr, 32
	.set _ZN9rocsparseL22bsrxmvn_general_kernelILj256ELj16E21rocsparse_complex_numIfElifS2_S2_EEv20rocsparse_direction_NS_24const_host_device_scalarIT1_EET3_PKS7_PKT2_SC_S9_PKT4_S7_PKT5_S6_PT6_21rocsparse_index_base_b.num_named_barrier, 0
	.set _ZN9rocsparseL22bsrxmvn_general_kernelILj256ELj16E21rocsparse_complex_numIfElifS2_S2_EEv20rocsparse_direction_NS_24const_host_device_scalarIT1_EET3_PKS7_PKT2_SC_S9_PKT4_S7_PKT5_S6_PT6_21rocsparse_index_base_b.private_seg_size, 0
	.set _ZN9rocsparseL22bsrxmvn_general_kernelILj256ELj16E21rocsparse_complex_numIfElifS2_S2_EEv20rocsparse_direction_NS_24const_host_device_scalarIT1_EET3_PKS7_PKT2_SC_S9_PKT4_S7_PKT5_S6_PT6_21rocsparse_index_base_b.uses_vcc, 1
	.set _ZN9rocsparseL22bsrxmvn_general_kernelILj256ELj16E21rocsparse_complex_numIfElifS2_S2_EEv20rocsparse_direction_NS_24const_host_device_scalarIT1_EET3_PKS7_PKT2_SC_S9_PKT4_S7_PKT5_S6_PT6_21rocsparse_index_base_b.uses_flat_scratch, 0
	.set _ZN9rocsparseL22bsrxmvn_general_kernelILj256ELj16E21rocsparse_complex_numIfElifS2_S2_EEv20rocsparse_direction_NS_24const_host_device_scalarIT1_EET3_PKS7_PKT2_SC_S9_PKT4_S7_PKT5_S6_PT6_21rocsparse_index_base_b.has_dyn_sized_stack, 0
	.set _ZN9rocsparseL22bsrxmvn_general_kernelILj256ELj16E21rocsparse_complex_numIfElifS2_S2_EEv20rocsparse_direction_NS_24const_host_device_scalarIT1_EET3_PKS7_PKT2_SC_S9_PKT4_S7_PKT5_S6_PT6_21rocsparse_index_base_b.has_recursion, 0
	.set _ZN9rocsparseL22bsrxmvn_general_kernelILj256ELj16E21rocsparse_complex_numIfElifS2_S2_EEv20rocsparse_direction_NS_24const_host_device_scalarIT1_EET3_PKS7_PKT2_SC_S9_PKT4_S7_PKT5_S6_PT6_21rocsparse_index_base_b.has_indirect_call, 0
	.section	.AMDGPU.csdata,"",@progbits
; Kernel info:
; codeLenInByte = 1448
; TotalNumSgprs: 34
; NumVgprs: 28
; ScratchSize: 0
; MemoryBound: 0
; FloatMode: 240
; IeeeMode: 1
; LDSByteSize: 0 bytes/workgroup (compile time only)
; SGPRBlocks: 0
; VGPRBlocks: 3
; NumSGPRsForWavesPerEU: 34
; NumVGPRsForWavesPerEU: 28
; Occupancy: 16
; WaveLimiterHint : 1
; COMPUTE_PGM_RSRC2:SCRATCH_EN: 0
; COMPUTE_PGM_RSRC2:USER_SGPR: 2
; COMPUTE_PGM_RSRC2:TRAP_HANDLER: 0
; COMPUTE_PGM_RSRC2:TGID_X_EN: 1
; COMPUTE_PGM_RSRC2:TGID_Y_EN: 0
; COMPUTE_PGM_RSRC2:TGID_Z_EN: 0
; COMPUTE_PGM_RSRC2:TIDIG_COMP_CNT: 0
	.section	.text._ZN9rocsparseL22bsrxmvn_general_kernelILj1024ELj32E21rocsparse_complex_numIfElifS2_S2_EEv20rocsparse_direction_NS_24const_host_device_scalarIT1_EET3_PKS7_PKT2_SC_S9_PKT4_S7_PKT5_S6_PT6_21rocsparse_index_base_b,"axG",@progbits,_ZN9rocsparseL22bsrxmvn_general_kernelILj1024ELj32E21rocsparse_complex_numIfElifS2_S2_EEv20rocsparse_direction_NS_24const_host_device_scalarIT1_EET3_PKS7_PKT2_SC_S9_PKT4_S7_PKT5_S6_PT6_21rocsparse_index_base_b,comdat
	.globl	_ZN9rocsparseL22bsrxmvn_general_kernelILj1024ELj32E21rocsparse_complex_numIfElifS2_S2_EEv20rocsparse_direction_NS_24const_host_device_scalarIT1_EET3_PKS7_PKT2_SC_S9_PKT4_S7_PKT5_S6_PT6_21rocsparse_index_base_b ; -- Begin function _ZN9rocsparseL22bsrxmvn_general_kernelILj1024ELj32E21rocsparse_complex_numIfElifS2_S2_EEv20rocsparse_direction_NS_24const_host_device_scalarIT1_EET3_PKS7_PKT2_SC_S9_PKT4_S7_PKT5_S6_PT6_21rocsparse_index_base_b
	.p2align	8
	.type	_ZN9rocsparseL22bsrxmvn_general_kernelILj1024ELj32E21rocsparse_complex_numIfElifS2_S2_EEv20rocsparse_direction_NS_24const_host_device_scalarIT1_EET3_PKS7_PKT2_SC_S9_PKT4_S7_PKT5_S6_PT6_21rocsparse_index_base_b,@function
_ZN9rocsparseL22bsrxmvn_general_kernelILj1024ELj32E21rocsparse_complex_numIfElifS2_S2_EEv20rocsparse_direction_NS_24const_host_device_scalarIT1_EET3_PKS7_PKT2_SC_S9_PKT4_S7_PKT5_S6_PT6_21rocsparse_index_base_b: ; @_ZN9rocsparseL22bsrxmvn_general_kernelILj1024ELj32E21rocsparse_complex_numIfElifS2_S2_EEv20rocsparse_direction_NS_24const_host_device_scalarIT1_EET3_PKS7_PKT2_SC_S9_PKT4_S7_PKT5_S6_PT6_21rocsparse_index_base_b
; %bb.0:
	s_clause 0x2
	s_load_b64 s[12:13], s[0:1], 0x60
	s_load_b64 s[2:3], s[0:1], 0x8
	;; [unrolled: 1-line block ×3, first 2 shown]
	s_add_nc_u64 s[6:7], s[0:1], 8
	s_wait_kmcnt 0x0
	s_bitcmp1_b32 s13, 0
	s_cselect_b32 s2, s6, s2
	s_cselect_b32 s3, s7, s3
	s_delay_alu instid0(SALU_CYCLE_1)
	v_dual_mov_b32 v1, s2 :: v_dual_mov_b32 v2, s3
	s_add_nc_u64 s[2:3], s[0:1], 0x50
	s_wait_alu 0xfffe
	s_cselect_b32 s2, s2, s4
	s_cselect_b32 s3, s3, s5
	flat_load_b64 v[1:2], v[1:2]
	s_wait_alu 0xfffe
	v_dual_mov_b32 v3, s2 :: v_dual_mov_b32 v4, s3
	flat_load_b64 v[3:4], v[3:4]
	s_wait_loadcnt_dscnt 0x101
	v_cmp_eq_f32_e32 vcc_lo, 0, v1
	v_cmp_eq_f32_e64 s2, 0, v2
	s_and_b32 s4, vcc_lo, s2
	s_mov_b32 s2, -1
	s_and_saveexec_b32 s3, s4
	s_cbranch_execz .LBB77_2
; %bb.1:
	s_wait_loadcnt_dscnt 0x0
	v_cmp_neq_f32_e32 vcc_lo, 1.0, v3
	v_cmp_neq_f32_e64 s2, 0, v4
	s_wait_alu 0xfffe
	s_or_b32 s2, vcc_lo, s2
	s_wait_alu 0xfffe
	s_or_not1_b32 s2, s2, exec_lo
.LBB77_2:
	s_wait_alu 0xfffe
	s_or_b32 exec_lo, exec_lo, s3
	s_and_saveexec_b32 s3, s2
	s_cbranch_execz .LBB77_25
; %bb.3:
	s_load_b64 s[2:3], s[0:1], 0x18
	s_wait_kmcnt 0x0
	s_cmp_eq_u64 s[2:3], 0
	s_cbranch_scc1 .LBB77_5
; %bb.4:
	s_mov_b32 s4, ttmp9
	s_ashr_i32 s5, ttmp9, 31
	s_delay_alu instid0(SALU_CYCLE_1) | instskip(NEXT) | instid1(SALU_CYCLE_1)
	s_lshl_b64 s[4:5], s[4:5], 2
	s_add_nc_u64 s[2:3], s[2:3], s[4:5]
	s_load_b32 s2, s[2:3], 0x0
	s_wait_kmcnt 0x0
	s_sub_co_i32 s22, s2, s12
	s_branch .LBB77_6
.LBB77_5:
	s_mov_b32 s22, ttmp9
.LBB77_6:
	s_load_b32 s14, s[0:1], 0x40
	v_lshrrev_b32_e32 v5, 5, v0
	s_wait_kmcnt 0x0
	s_delay_alu instid0(VALU_DEP_1)
	v_cmp_gt_i32_e32 vcc_lo, s14, v5
	s_and_b32 exec_lo, exec_lo, vcc_lo
	s_cbranch_execz .LBB77_25
; %bb.7:
	s_clause 0x2
	s_load_b256 s[4:11], s[0:1], 0x20
	s_load_b64 s[16:17], s[0:1], 0x58
	s_load_b64 s[18:19], s[0:1], 0x48
	v_dual_mov_b32 v6, 0 :: v_dual_and_b32 v7, 31, v0
	v_mbcnt_lo_u32_b32 v0, -1, 0
	s_ashr_i32 s23, s22, 31
	s_load_b32 s3, s[0:1], 0x0
	s_lshl_b64 s[24:25], s[22:23], 3
	s_mov_b32 s13, 0
	v_xor_b32_e32 v8, 16, v0
	v_xor_b32_e32 v9, 8, v0
	;; [unrolled: 1-line block ×5, first 2 shown]
	v_cmp_gt_i32_e64 s1, 32, v8
	v_mul_lo_u32 v19, s14, v5
	v_mul_lo_u32 v20, s14, v7
	s_wait_loadcnt_dscnt 0x0
	v_cmp_eq_f32_e32 vcc_lo, 0, v3
	v_cmp_eq_f32_e64 s2, 0, v4
	s_wait_kmcnt 0x0
	s_add_nc_u64 s[4:5], s[4:5], s[24:25]
	v_cndmask_b32_e64 v8, v0, v8, s1
	v_cmp_gt_i32_e64 s1, 32, v9
	s_add_nc_u64 s[24:25], s[6:7], s[24:25]
	s_cmp_eq_u64 s[6:7], 0
	s_add_nc_u64 s[6:7], s[4:5], 8
	s_mov_b32 s15, s13
	s_cselect_b32 s7, s7, s25
	s_cselect_b32 s6, s6, s24
	s_load_b64 s[26:27], s[4:5], 0x0
	s_load_b64 s[28:29], s[6:7], 0x0
	v_cndmask_b32_e64 v9, v0, v9, s1
	v_cmp_gt_i32_e64 s1, 32, v10
	v_cmp_gt_u32_e64 s0, s14, v7
	s_mul_u64 s[20:21], s[14:15], s[14:15]
	s_cmp_lg_u32 s3, 0
	v_lshlrev_b32_e32 v15, 2, v9
	v_cndmask_b32_e64 v10, v0, v10, s1
	v_cmp_gt_i32_e64 s1, 32, v11
	s_cselect_b32 s15, -1, 0
	s_and_b32 s24, vcc_lo, s2
	v_lshlrev_b32_e32 v16, 2, v10
	v_cndmask_b32_e64 v11, v0, v11, s1
	v_cmp_gt_i32_e64 s1, 32, v12
	s_delay_alu instid0(VALU_DEP_2) | instskip(SKIP_1) | instid1(VALU_DEP_2)
	v_lshlrev_b32_e32 v17, 2, v11
	s_wait_alu 0xf1ff
	v_cndmask_b32_e64 v12, v0, v12, s1
	s_wait_kmcnt 0x0
	v_cmp_lt_i64_e64 s25, s[26:27], s[28:29]
	v_lshlrev_b32_e32 v0, 2, v8
	v_cmp_eq_u32_e64 s1, 31, v7
	v_mov_b32_e32 v8, v6
	v_lshlrev_b32_e32 v18, 2, v12
	s_sub_nc_u64 s[4:5], s[26:27], s[12:13]
	s_sub_nc_u64 s[6:7], s[28:29], s[12:13]
	s_mul_i32 s26, s22, s14
	s_mul_u64 s[2:3], s[4:5], s[20:21]
	s_lshl_b32 s27, s14, 5
	s_branch .LBB77_9
.LBB77_8:                               ;   in Loop: Header=BB77_9 Depth=1
	s_wait_alu 0xfffe
	s_or_b32 exec_lo, exec_lo, s22
	v_add_nc_u32_e32 v5, 32, v5
	v_add_nc_u32_e32 v19, s27, v19
	s_delay_alu instid0(VALU_DEP_2) | instskip(SKIP_1) | instid1(SALU_CYCLE_1)
	v_cmp_le_i32_e32 vcc_lo, s14, v5
	s_or_b32 s13, vcc_lo, s13
	s_and_not1_b32 exec_lo, exec_lo, s13
	s_cbranch_execz .LBB77_25
.LBB77_9:                               ; =>This Loop Header: Depth=1
                                        ;     Child Loop BB77_13 Depth 2
                                        ;       Child Loop BB77_16 Depth 3
	v_dual_mov_b32 v21, 0 :: v_dual_mov_b32 v22, 0
	s_and_not1_b32 vcc_lo, exec_lo, s25
	s_wait_alu 0xfffe
	s_cbranch_vccnz .LBB77_20
; %bb.10:                               ;   in Loop: Header=BB77_9 Depth=1
	v_ashrrev_i32_e32 v9, 31, v19
	v_add_co_u32 v23, vcc_lo, s2, v19
	v_dual_mov_b32 v21, 0 :: v_dual_mov_b32 v22, 0
	s_wait_alu 0xfffd
	s_delay_alu instid0(VALU_DEP_3)
	v_add_co_ci_u32_e64 v24, null, s3, v9, vcc_lo
	s_mov_b64 s[22:23], s[4:5]
	s_branch .LBB77_13
.LBB77_11:                              ;   in Loop: Header=BB77_13 Depth=2
	s_or_b32 exec_lo, exec_lo, s29
.LBB77_12:                              ;   in Loop: Header=BB77_13 Depth=2
	s_wait_alu 0xfffe
	s_or_b32 exec_lo, exec_lo, s28
	s_add_nc_u64 s[22:23], s[22:23], 1
	v_add_co_u32 v23, vcc_lo, v23, s20
	s_wait_alu 0xfffe
	v_cmp_ge_i64_e64 s28, s[22:23], s[6:7]
	s_wait_alu 0xfffd
	v_add_co_ci_u32_e64 v24, null, s21, v24, vcc_lo
	s_and_b32 vcc_lo, exec_lo, s28
	s_wait_alu 0xfffe
	s_cbranch_vccnz .LBB77_20
.LBB77_13:                              ;   Parent Loop BB77_9 Depth=1
                                        ; =>  This Loop Header: Depth=2
                                        ;       Child Loop BB77_16 Depth 3
	s_and_saveexec_b32 s28, s0
	s_cbranch_execz .LBB77_12
; %bb.14:                               ;   in Loop: Header=BB77_13 Depth=2
	s_wait_alu 0xfffe
	s_lshl_b64 s[30:31], s[22:23], 2
	s_wait_dscnt 0x1
	v_mad_co_u64_u32 v[9:10], null, s20, s22, v[5:6]
	s_wait_alu 0xfffe
	s_add_nc_u64 s[30:31], s[8:9], s[30:31]
	s_wait_dscnt 0x0
	v_dual_mov_b32 v25, v20 :: v_dual_mov_b32 v12, v8
	s_load_b32 s29, s[30:31], 0x0
	s_mul_i32 s30, s21, s22
	s_mul_i32 s31, s20, s23
	v_mov_b32_e32 v11, v7
	s_wait_alu 0xfffe
	v_add3_u32 v10, s31, s30, v10
	s_wait_kmcnt 0x0
	s_sub_co_i32 s29, s29, s12
	s_wait_alu 0xfffe
	s_mul_i32 s30, s29, s14
	s_mov_b32 s29, 0
	s_branch .LBB77_16
.LBB77_15:                              ;   in Loop: Header=BB77_16 Depth=3
	v_add_nc_u32_e32 v26, s30, v11
	s_delay_alu instid0(VALU_DEP_2) | instskip(SKIP_1) | instid1(VALU_DEP_3)
	v_lshlrev_b64_e32 v[13:14], 2, v[13:14]
	v_add_nc_u32_e32 v25, s27, v25
	v_ashrrev_i32_e32 v27, 31, v26
	s_delay_alu instid0(VALU_DEP_3) | instskip(SKIP_1) | instid1(VALU_DEP_4)
	v_add_co_u32 v13, vcc_lo, s10, v13
	s_wait_alu 0xfffd
	v_add_co_ci_u32_e64 v14, null, s11, v14, vcc_lo
	s_delay_alu instid0(VALU_DEP_3) | instskip(NEXT) | instid1(VALU_DEP_1)
	v_lshlrev_b64_e32 v[26:27], 3, v[26:27]
	v_add_co_u32 v26, vcc_lo, s18, v26
	s_wait_alu 0xfffd
	s_delay_alu instid0(VALU_DEP_2)
	v_add_co_ci_u32_e64 v27, null, s19, v27, vcc_lo
	global_load_b32 v28, v[13:14], off
	global_load_b64 v[13:14], v[26:27], off
	v_add_co_u32 v11, vcc_lo, v11, 32
	s_wait_alu 0xfffd
	v_add_co_ci_u32_e64 v12, null, 0, v12, vcc_lo
	s_delay_alu instid0(VALU_DEP_2) | instskip(SKIP_3) | instid1(VALU_DEP_1)
	v_cmp_le_i32_e32 vcc_lo, s14, v11
	s_or_b32 s29, vcc_lo, s29
	s_wait_loadcnt 0x0
	v_fmac_f32_e32 v22, v28, v13
	v_dual_fmac_f32 v21, 0, v13 :: v_dual_fmac_f32 v22, 0x80000000, v14
	s_delay_alu instid0(VALU_DEP_1)
	v_fmac_f32_e32 v21, v28, v14
	s_wait_alu 0xfffe
	s_and_not1_b32 exec_lo, exec_lo, s29
	s_cbranch_execz .LBB77_11
.LBB77_16:                              ;   Parent Loop BB77_9 Depth=1
                                        ;     Parent Loop BB77_13 Depth=2
                                        ; =>    This Inner Loop Header: Depth=3
	s_and_b32 vcc_lo, exec_lo, s15
	s_wait_alu 0xfffe
	s_cbranch_vccz .LBB77_18
; %bb.17:                               ;   in Loop: Header=BB77_16 Depth=3
	v_ashrrev_i32_e32 v14, 31, v25
	v_add_co_u32 v13, vcc_lo, v9, v25
	s_wait_alu 0xfffd
	s_delay_alu instid0(VALU_DEP_2)
	v_add_co_ci_u32_e64 v14, null, v10, v14, vcc_lo
	s_cbranch_execnz .LBB77_15
	s_branch .LBB77_19
.LBB77_18:                              ;   in Loop: Header=BB77_16 Depth=3
                                        ; implicit-def: $vgpr13_vgpr14
.LBB77_19:                              ;   in Loop: Header=BB77_16 Depth=3
	v_add_co_u32 v13, vcc_lo, v23, v11
	s_wait_alu 0xfffd
	v_add_co_ci_u32_e64 v14, null, v24, v12, vcc_lo
	s_branch .LBB77_15
.LBB77_20:                              ;   in Loop: Header=BB77_9 Depth=1
	ds_bpermute_b32 v9, v0, v22
	s_wait_dscnt 0x2
	ds_bpermute_b32 v10, v0, v21
	s_wait_dscnt 0x0
	v_dual_add_f32 v9, v22, v9 :: v_dual_add_f32 v10, v21, v10
	ds_bpermute_b32 v11, v15, v9
	ds_bpermute_b32 v12, v15, v10
	s_wait_dscnt 0x0
	v_dual_add_f32 v9, v9, v11 :: v_dual_add_f32 v10, v10, v12
	ds_bpermute_b32 v11, v16, v9
	;; [unrolled: 4-line block ×3, first 2 shown]
	ds_bpermute_b32 v12, v17, v10
	s_wait_dscnt 0x1
	v_add_f32_e32 v9, v9, v11
	s_wait_dscnt 0x0
	v_add_f32_e32 v11, v10, v12
	ds_bpermute_b32 v10, v18, v9
	ds_bpermute_b32 v12, v18, v11
	s_and_saveexec_b32 s22, s1
	s_cbranch_execz .LBB77_8
; %bb.21:                               ;   in Loop: Header=BB77_9 Depth=1
	s_wait_dscnt 0x0
	v_dual_add_f32 v11, v11, v12 :: v_dual_add_f32 v12, v9, v10
	s_delay_alu instid0(VALU_DEP_1) | instskip(SKIP_2) | instid1(VALU_DEP_2)
	v_mul_f32_e64 v9, v11, -v2
	s_wait_alu 0xfffe
	v_dual_mul_f32 v10, v1, v11 :: v_dual_add_nc_u32 v11, s26, v5
	v_fmac_f32_e32 v9, v1, v12
	s_delay_alu instid0(VALU_DEP_2) | instskip(NEXT) | instid1(VALU_DEP_3)
	v_fmac_f32_e32 v10, v2, v12
	v_ashrrev_i32_e32 v12, 31, v11
	s_and_saveexec_b32 s23, s24
	s_wait_alu 0xfffe
	s_xor_b32 s23, exec_lo, s23
	s_cbranch_execz .LBB77_23
; %bb.22:                               ;   in Loop: Header=BB77_9 Depth=1
	v_lshlrev_b64_e32 v[11:12], 3, v[11:12]
	s_delay_alu instid0(VALU_DEP_1) | instskip(SKIP_1) | instid1(VALU_DEP_2)
	v_add_co_u32 v11, vcc_lo, s16, v11
	s_wait_alu 0xfffd
	v_add_co_ci_u32_e64 v12, null, s17, v12, vcc_lo
	global_store_b64 v[11:12], v[9:10], off
                                        ; implicit-def: $vgpr11
                                        ; implicit-def: $vgpr9
.LBB77_23:                              ;   in Loop: Header=BB77_9 Depth=1
	s_wait_alu 0xfffe
	s_and_not1_saveexec_b32 s23, s23
	s_cbranch_execz .LBB77_8
; %bb.24:                               ;   in Loop: Header=BB77_9 Depth=1
	v_lshlrev_b64_e32 v[11:12], 3, v[11:12]
	s_delay_alu instid0(VALU_DEP_1) | instskip(SKIP_1) | instid1(VALU_DEP_2)
	v_add_co_u32 v11, vcc_lo, s16, v11
	s_wait_alu 0xfffd
	v_add_co_ci_u32_e64 v12, null, s17, v12, vcc_lo
	global_load_b64 v[13:14], v[11:12], off
	s_wait_loadcnt 0x0
	v_fmac_f32_e32 v9, v3, v13
	v_fmac_f32_e32 v10, v4, v13
	s_delay_alu instid0(VALU_DEP_2) | instskip(NEXT) | instid1(VALU_DEP_2)
	v_fma_f32 v9, -v4, v14, v9
	v_fmac_f32_e32 v10, v3, v14
	global_store_b64 v[11:12], v[9:10], off
	s_branch .LBB77_8
.LBB77_25:
	s_endpgm
	.section	.rodata,"a",@progbits
	.p2align	6, 0x0
	.amdhsa_kernel _ZN9rocsparseL22bsrxmvn_general_kernelILj1024ELj32E21rocsparse_complex_numIfElifS2_S2_EEv20rocsparse_direction_NS_24const_host_device_scalarIT1_EET3_PKS7_PKT2_SC_S9_PKT4_S7_PKT5_S6_PT6_21rocsparse_index_base_b
		.amdhsa_group_segment_fixed_size 0
		.amdhsa_private_segment_fixed_size 0
		.amdhsa_kernarg_size 104
		.amdhsa_user_sgpr_count 2
		.amdhsa_user_sgpr_dispatch_ptr 0
		.amdhsa_user_sgpr_queue_ptr 0
		.amdhsa_user_sgpr_kernarg_segment_ptr 1
		.amdhsa_user_sgpr_dispatch_id 0
		.amdhsa_user_sgpr_private_segment_size 0
		.amdhsa_wavefront_size32 1
		.amdhsa_uses_dynamic_stack 0
		.amdhsa_enable_private_segment 0
		.amdhsa_system_sgpr_workgroup_id_x 1
		.amdhsa_system_sgpr_workgroup_id_y 0
		.amdhsa_system_sgpr_workgroup_id_z 0
		.amdhsa_system_sgpr_workgroup_info 0
		.amdhsa_system_vgpr_workitem_id 0
		.amdhsa_next_free_vgpr 29
		.amdhsa_next_free_sgpr 32
		.amdhsa_reserve_vcc 1
		.amdhsa_float_round_mode_32 0
		.amdhsa_float_round_mode_16_64 0
		.amdhsa_float_denorm_mode_32 3
		.amdhsa_float_denorm_mode_16_64 3
		.amdhsa_fp16_overflow 0
		.amdhsa_workgroup_processor_mode 1
		.amdhsa_memory_ordered 1
		.amdhsa_forward_progress 1
		.amdhsa_inst_pref_size 12
		.amdhsa_round_robin_scheduling 0
		.amdhsa_exception_fp_ieee_invalid_op 0
		.amdhsa_exception_fp_denorm_src 0
		.amdhsa_exception_fp_ieee_div_zero 0
		.amdhsa_exception_fp_ieee_overflow 0
		.amdhsa_exception_fp_ieee_underflow 0
		.amdhsa_exception_fp_ieee_inexact 0
		.amdhsa_exception_int_div_zero 0
	.end_amdhsa_kernel
	.section	.text._ZN9rocsparseL22bsrxmvn_general_kernelILj1024ELj32E21rocsparse_complex_numIfElifS2_S2_EEv20rocsparse_direction_NS_24const_host_device_scalarIT1_EET3_PKS7_PKT2_SC_S9_PKT4_S7_PKT5_S6_PT6_21rocsparse_index_base_b,"axG",@progbits,_ZN9rocsparseL22bsrxmvn_general_kernelILj1024ELj32E21rocsparse_complex_numIfElifS2_S2_EEv20rocsparse_direction_NS_24const_host_device_scalarIT1_EET3_PKS7_PKT2_SC_S9_PKT4_S7_PKT5_S6_PT6_21rocsparse_index_base_b,comdat
.Lfunc_end77:
	.size	_ZN9rocsparseL22bsrxmvn_general_kernelILj1024ELj32E21rocsparse_complex_numIfElifS2_S2_EEv20rocsparse_direction_NS_24const_host_device_scalarIT1_EET3_PKS7_PKT2_SC_S9_PKT4_S7_PKT5_S6_PT6_21rocsparse_index_base_b, .Lfunc_end77-_ZN9rocsparseL22bsrxmvn_general_kernelILj1024ELj32E21rocsparse_complex_numIfElifS2_S2_EEv20rocsparse_direction_NS_24const_host_device_scalarIT1_EET3_PKS7_PKT2_SC_S9_PKT4_S7_PKT5_S6_PT6_21rocsparse_index_base_b
                                        ; -- End function
	.set _ZN9rocsparseL22bsrxmvn_general_kernelILj1024ELj32E21rocsparse_complex_numIfElifS2_S2_EEv20rocsparse_direction_NS_24const_host_device_scalarIT1_EET3_PKS7_PKT2_SC_S9_PKT4_S7_PKT5_S6_PT6_21rocsparse_index_base_b.num_vgpr, 29
	.set _ZN9rocsparseL22bsrxmvn_general_kernelILj1024ELj32E21rocsparse_complex_numIfElifS2_S2_EEv20rocsparse_direction_NS_24const_host_device_scalarIT1_EET3_PKS7_PKT2_SC_S9_PKT4_S7_PKT5_S6_PT6_21rocsparse_index_base_b.num_agpr, 0
	.set _ZN9rocsparseL22bsrxmvn_general_kernelILj1024ELj32E21rocsparse_complex_numIfElifS2_S2_EEv20rocsparse_direction_NS_24const_host_device_scalarIT1_EET3_PKS7_PKT2_SC_S9_PKT4_S7_PKT5_S6_PT6_21rocsparse_index_base_b.numbered_sgpr, 32
	.set _ZN9rocsparseL22bsrxmvn_general_kernelILj1024ELj32E21rocsparse_complex_numIfElifS2_S2_EEv20rocsparse_direction_NS_24const_host_device_scalarIT1_EET3_PKS7_PKT2_SC_S9_PKT4_S7_PKT5_S6_PT6_21rocsparse_index_base_b.num_named_barrier, 0
	.set _ZN9rocsparseL22bsrxmvn_general_kernelILj1024ELj32E21rocsparse_complex_numIfElifS2_S2_EEv20rocsparse_direction_NS_24const_host_device_scalarIT1_EET3_PKS7_PKT2_SC_S9_PKT4_S7_PKT5_S6_PT6_21rocsparse_index_base_b.private_seg_size, 0
	.set _ZN9rocsparseL22bsrxmvn_general_kernelILj1024ELj32E21rocsparse_complex_numIfElifS2_S2_EEv20rocsparse_direction_NS_24const_host_device_scalarIT1_EET3_PKS7_PKT2_SC_S9_PKT4_S7_PKT5_S6_PT6_21rocsparse_index_base_b.uses_vcc, 1
	.set _ZN9rocsparseL22bsrxmvn_general_kernelILj1024ELj32E21rocsparse_complex_numIfElifS2_S2_EEv20rocsparse_direction_NS_24const_host_device_scalarIT1_EET3_PKS7_PKT2_SC_S9_PKT4_S7_PKT5_S6_PT6_21rocsparse_index_base_b.uses_flat_scratch, 0
	.set _ZN9rocsparseL22bsrxmvn_general_kernelILj1024ELj32E21rocsparse_complex_numIfElifS2_S2_EEv20rocsparse_direction_NS_24const_host_device_scalarIT1_EET3_PKS7_PKT2_SC_S9_PKT4_S7_PKT5_S6_PT6_21rocsparse_index_base_b.has_dyn_sized_stack, 0
	.set _ZN9rocsparseL22bsrxmvn_general_kernelILj1024ELj32E21rocsparse_complex_numIfElifS2_S2_EEv20rocsparse_direction_NS_24const_host_device_scalarIT1_EET3_PKS7_PKT2_SC_S9_PKT4_S7_PKT5_S6_PT6_21rocsparse_index_base_b.has_recursion, 0
	.set _ZN9rocsparseL22bsrxmvn_general_kernelILj1024ELj32E21rocsparse_complex_numIfElifS2_S2_EEv20rocsparse_direction_NS_24const_host_device_scalarIT1_EET3_PKS7_PKT2_SC_S9_PKT4_S7_PKT5_S6_PT6_21rocsparse_index_base_b.has_indirect_call, 0
	.section	.AMDGPU.csdata,"",@progbits
; Kernel info:
; codeLenInByte = 1496
; TotalNumSgprs: 34
; NumVgprs: 29
; ScratchSize: 0
; MemoryBound: 0
; FloatMode: 240
; IeeeMode: 1
; LDSByteSize: 0 bytes/workgroup (compile time only)
; SGPRBlocks: 0
; VGPRBlocks: 3
; NumSGPRsForWavesPerEU: 34
; NumVGPRsForWavesPerEU: 29
; Occupancy: 16
; WaveLimiterHint : 1
; COMPUTE_PGM_RSRC2:SCRATCH_EN: 0
; COMPUTE_PGM_RSRC2:USER_SGPR: 2
; COMPUTE_PGM_RSRC2:TRAP_HANDLER: 0
; COMPUTE_PGM_RSRC2:TGID_X_EN: 1
; COMPUTE_PGM_RSRC2:TGID_Y_EN: 0
; COMPUTE_PGM_RSRC2:TGID_Z_EN: 0
; COMPUTE_PGM_RSRC2:TIDIG_COMP_CNT: 0
	.section	.text._ZN9rocsparseL22bsrxmvn_general_kernelILj64ELj8E21rocsparse_complex_numIfEllfS2_S2_EEv20rocsparse_direction_NS_24const_host_device_scalarIT1_EET3_PKS7_PKT2_SC_S9_PKT4_S7_PKT5_S6_PT6_21rocsparse_index_base_b,"axG",@progbits,_ZN9rocsparseL22bsrxmvn_general_kernelILj64ELj8E21rocsparse_complex_numIfEllfS2_S2_EEv20rocsparse_direction_NS_24const_host_device_scalarIT1_EET3_PKS7_PKT2_SC_S9_PKT4_S7_PKT5_S6_PT6_21rocsparse_index_base_b,comdat
	.globl	_ZN9rocsparseL22bsrxmvn_general_kernelILj64ELj8E21rocsparse_complex_numIfEllfS2_S2_EEv20rocsparse_direction_NS_24const_host_device_scalarIT1_EET3_PKS7_PKT2_SC_S9_PKT4_S7_PKT5_S6_PT6_21rocsparse_index_base_b ; -- Begin function _ZN9rocsparseL22bsrxmvn_general_kernelILj64ELj8E21rocsparse_complex_numIfEllfS2_S2_EEv20rocsparse_direction_NS_24const_host_device_scalarIT1_EET3_PKS7_PKT2_SC_S9_PKT4_S7_PKT5_S6_PT6_21rocsparse_index_base_b
	.p2align	8
	.type	_ZN9rocsparseL22bsrxmvn_general_kernelILj64ELj8E21rocsparse_complex_numIfEllfS2_S2_EEv20rocsparse_direction_NS_24const_host_device_scalarIT1_EET3_PKS7_PKT2_SC_S9_PKT4_S7_PKT5_S6_PT6_21rocsparse_index_base_b,@function
_ZN9rocsparseL22bsrxmvn_general_kernelILj64ELj8E21rocsparse_complex_numIfEllfS2_S2_EEv20rocsparse_direction_NS_24const_host_device_scalarIT1_EET3_PKS7_PKT2_SC_S9_PKT4_S7_PKT5_S6_PT6_21rocsparse_index_base_b: ; @_ZN9rocsparseL22bsrxmvn_general_kernelILj64ELj8E21rocsparse_complex_numIfEllfS2_S2_EEv20rocsparse_direction_NS_24const_host_device_scalarIT1_EET3_PKS7_PKT2_SC_S9_PKT4_S7_PKT5_S6_PT6_21rocsparse_index_base_b
; %bb.0:
	s_clause 0x2
	s_load_b64 s[12:13], s[0:1], 0x60
	s_load_b64 s[2:3], s[0:1], 0x8
	;; [unrolled: 1-line block ×3, first 2 shown]
	s_add_nc_u64 s[6:7], s[0:1], 8
	s_wait_kmcnt 0x0
	s_bitcmp1_b32 s13, 0
	s_cselect_b32 s2, s6, s2
	s_cselect_b32 s3, s7, s3
	s_delay_alu instid0(SALU_CYCLE_1)
	v_dual_mov_b32 v1, s2 :: v_dual_mov_b32 v2, s3
	s_add_nc_u64 s[2:3], s[0:1], 0x50
	s_wait_alu 0xfffe
	s_cselect_b32 s2, s2, s4
	s_cselect_b32 s3, s3, s5
	flat_load_b64 v[1:2], v[1:2]
	s_wait_alu 0xfffe
	v_dual_mov_b32 v3, s2 :: v_dual_mov_b32 v4, s3
	flat_load_b64 v[3:4], v[3:4]
	s_wait_loadcnt_dscnt 0x101
	v_cmp_eq_f32_e32 vcc_lo, 0, v1
	v_cmp_eq_f32_e64 s2, 0, v2
	s_and_b32 s4, vcc_lo, s2
	s_mov_b32 s2, -1
	s_and_saveexec_b32 s3, s4
	s_cbranch_execz .LBB78_2
; %bb.1:
	s_wait_loadcnt_dscnt 0x0
	v_cmp_neq_f32_e32 vcc_lo, 1.0, v3
	v_cmp_neq_f32_e64 s2, 0, v4
	s_wait_alu 0xfffe
	s_or_b32 s2, vcc_lo, s2
	s_wait_alu 0xfffe
	s_or_not1_b32 s2, s2, exec_lo
.LBB78_2:
	s_wait_alu 0xfffe
	s_or_b32 exec_lo, exec_lo, s3
	s_and_saveexec_b32 s3, s2
	s_cbranch_execz .LBB78_24
; %bb.3:
	s_load_b64 s[2:3], s[0:1], 0x18
	s_mov_b32 s17, 0
	s_mov_b32 s16, ttmp9
	s_mov_b32 s13, s17
	s_wait_kmcnt 0x0
	s_cmp_eq_u64 s[2:3], 0
	s_cbranch_scc1 .LBB78_5
; %bb.4:
	s_lshl_b64 s[4:5], s[16:17], 3
	s_delay_alu instid0(SALU_CYCLE_1)
	s_add_nc_u64 s[2:3], s[2:3], s[4:5]
	s_load_b64 s[2:3], s[2:3], 0x0
	s_wait_kmcnt 0x0
	s_sub_nc_u64 s[16:17], s[2:3], s[12:13]
.LBB78_5:
	s_load_b64 s[14:15], s[0:1], 0x40
	v_lshrrev_b32_e32 v5, 3, v0
	v_mov_b32_e32 v6, 0
	s_wait_kmcnt 0x0
	s_delay_alu instid0(VALU_DEP_1)
	v_cmp_gt_i64_e32 vcc_lo, s[14:15], v[5:6]
	s_and_b32 exec_lo, exec_lo, vcc_lo
	s_cbranch_execz .LBB78_24
; %bb.6:
	s_clause 0x2
	s_load_b256 s[4:11], s[0:1], 0x20
	s_load_b64 s[18:19], s[0:1], 0x48
	s_load_b64 s[20:21], s[0:1], 0x58
	s_lshl_b64 s[22:23], s[16:17], 3
	v_dual_mov_b32 v8, v6 :: v_dual_and_b32 v7, 7, v0
	v_mbcnt_lo_u32_b32 v0, -1, 0
	s_load_b32 s27, s[0:1], 0x0
	s_wait_loadcnt_dscnt 0x0
	v_cmp_eq_f32_e32 vcc_lo, 0, v3
	v_lshlrev_b32_e32 v12, 3, v7
	v_cmp_eq_f32_e64 s2, 0, v4
	v_xor_b32_e32 v9, 4, v0
	v_xor_b32_e32 v10, 2, v0
	;; [unrolled: 1-line block ×3, first 2 shown]
	s_mul_u64 s[16:17], s[16:17], s[14:15]
	v_cmp_gt_u64_e64 s0, s[14:15], v[7:8]
	v_cmp_gt_i32_e64 s3, 32, v9
	v_cmp_eq_u32_e64 s1, 7, v7
	s_mov_b32 s26, 0
	s_wait_kmcnt 0x0
	s_add_nc_u64 s[4:5], s[4:5], s[22:23]
	s_wait_alu 0xf1ff
	v_cndmask_b32_e64 v9, v0, v9, s3
	s_load_b64 s[24:25], s[4:5], 0x0
	v_cmp_gt_i32_e64 s3, 32, v10
	s_add_nc_u64 s[22:23], s[6:7], s[22:23]
	s_cmp_eq_u64 s[6:7], 0
	s_add_nc_u64 s[4:5], s[4:5], 8
	s_wait_alu 0xf1ff
	v_cndmask_b32_e64 v10, v0, v10, s3
	v_cmp_gt_i32_e64 s3, 32, v11
	s_cselect_b32 s7, s5, s23
	s_cselect_b32 s6, s4, s22
	s_cmp_lg_u32 s27, 0
	v_lshlrev_b32_e32 v21, 2, v10
	s_wait_alu 0xf1ff
	v_cndmask_b32_e64 v11, v0, v11, s3
	v_lshlrev_b32_e32 v0, 2, v9
	s_load_b64 s[22:23], s[6:7], 0x0
	s_delay_alu instid0(VALU_DEP_2)
	v_lshlrev_b32_e32 v22, 2, v11
	v_add_co_u32 v11, s7, s18, v12
	s_wait_kmcnt 0x0
	s_sub_nc_u64 s[4:5], s[24:25], s[12:13]
	v_add_co_ci_u32_e64 v12, null, s19, 0, s7
	v_mad_co_u64_u32 v[9:10], null, s14, s4, v[5:6]
	s_mul_i32 s3, s15, s4
	s_mul_i32 s6, s14, s5
	s_wait_alu 0xfffe
	v_add3_u32 v13, s6, s3, v10
	v_mul_lo_u32 v14, s15, v9
	v_mad_co_u64_u32 v[9:10], null, s14, v9, 0
	v_add_co_u32 v11, s3, v11, 4
	s_delay_alu instid0(VALU_DEP_4)
	v_mul_lo_u32 v13, s14, v13
	v_cmp_lt_i64_e64 s28, s[24:25], s[22:23]
	s_wait_alu 0xf1ff
	v_add_co_ci_u32_e64 v12, null, 0, v12, s3
	s_cselect_b32 s3, -1, 0
	s_lshl_b64 s[16:17], s[16:17], 3
	s_and_b32 s27, vcc_lo, s2
	s_sub_nc_u64 s[6:7], s[22:23], s[12:13]
	v_add3_u32 v10, v10, v13, v14
	s_add_nc_u64 s[16:17], s[20:21], s[16:17]
	s_lshl_b64 s[18:19], s[14:15], 3
	s_mul_u64 s[20:21], s[14:15], s[14:15]
	s_branch .LBB78_8
.LBB78_7:                               ;   in Loop: Header=BB78_8 Depth=1
	s_wait_alu 0xfffe
	s_or_b32 exec_lo, exec_lo, s2
	v_add_co_u32 v5, vcc_lo, v5, 8
	s_wait_alu 0xfffd
	v_add_co_ci_u32_e64 v6, null, 0, v6, vcc_lo
	v_add_co_u32 v9, s2, v9, s18
	s_wait_alu 0xf1ff
	v_add_co_ci_u32_e64 v10, null, s19, v10, s2
	s_delay_alu instid0(VALU_DEP_3) | instskip(SKIP_1) | instid1(SALU_CYCLE_1)
	v_cmp_le_i64_e32 vcc_lo, s[14:15], v[5:6]
	s_or_b32 s26, vcc_lo, s26
	s_and_not1_b32 exec_lo, exec_lo, s26
	s_cbranch_execz .LBB78_24
.LBB78_8:                               ; =>This Loop Header: Depth=1
                                        ;     Child Loop BB78_12 Depth 2
                                        ;       Child Loop BB78_15 Depth 3
	v_dual_mov_b32 v23, 0 :: v_dual_mov_b32 v24, 0
	s_and_not1_b32 vcc_lo, exec_lo, s28
	s_wait_alu 0xfffe
	s_cbranch_vccnz .LBB78_19
; %bb.9:                                ;   in Loop: Header=BB78_8 Depth=1
	s_wait_dscnt 0x1
	v_dual_mov_b32 v23, 0 :: v_dual_mov_b32 v14, v10
	v_dual_mov_b32 v13, v9 :: v_dual_mov_b32 v24, 0
	s_mov_b64 s[22:23], s[4:5]
	s_branch .LBB78_12
.LBB78_10:                              ;   in Loop: Header=BB78_12 Depth=2
	s_or_b32 exec_lo, exec_lo, s30
.LBB78_11:                              ;   in Loop: Header=BB78_12 Depth=2
	s_delay_alu instid0(SALU_CYCLE_1)
	s_or_b32 exec_lo, exec_lo, s29
	s_wait_alu 0xfffe
	s_add_nc_u64 s[22:23], s[22:23], 1
	v_add_co_u32 v13, vcc_lo, v13, s20
	s_wait_alu 0xfffe
	v_cmp_ge_i64_e64 s2, s[22:23], s[6:7]
	s_wait_alu 0xfffd
	v_add_co_ci_u32_e64 v14, null, s21, v14, vcc_lo
	s_and_b32 vcc_lo, exec_lo, s2
	s_wait_alu 0xfffe
	s_cbranch_vccnz .LBB78_19
.LBB78_12:                              ;   Parent Loop BB78_8 Depth=1
                                        ; =>  This Loop Header: Depth=2
                                        ;       Child Loop BB78_15 Depth 3
	s_and_saveexec_b32 s29, s0
	s_cbranch_execz .LBB78_11
; %bb.13:                               ;   in Loop: Header=BB78_12 Depth=2
	s_wait_alu 0xfffe
	s_lshl_b64 s[24:25], s[22:23], 3
	v_dual_mov_b32 v18, v8 :: v_dual_mov_b32 v17, v7
	s_wait_alu 0xfffe
	s_add_nc_u64 s[24:25], s[8:9], s[24:25]
	s_mov_b32 s30, 0
	s_load_b64 s[24:25], s[24:25], 0x0
	s_wait_kmcnt 0x0
	s_sub_nc_u64 s[24:25], s[24:25], s[12:13]
	s_wait_dscnt 0x0
	s_wait_alu 0xfffe
	v_mad_co_u64_u32 v[15:16], null, s18, s24, v[11:12]
	s_mul_i32 s2, s19, s24
	s_mul_i32 s24, s18, s25
	s_wait_alu 0xfffe
	v_add3_u32 v16, s24, s2, v16
	s_mul_u64 s[24:25], s[22:23], s[14:15]
	s_branch .LBB78_15
.LBB78_14:                              ;   in Loop: Header=BB78_15 Depth=3
	s_delay_alu instid0(VALU_DEP_1) | instskip(NEXT) | instid1(VALU_DEP_1)
	v_lshlrev_b64_e32 v[19:20], 2, v[19:20]
	v_add_co_u32 v19, vcc_lo, s10, v19
	s_wait_alu 0xfffd
	s_delay_alu instid0(VALU_DEP_2)
	v_add_co_ci_u32_e64 v20, null, s11, v20, vcc_lo
	v_add_co_u32 v17, vcc_lo, v17, 8
	global_load_b64 v[25:26], v[15:16], off offset:-4
	global_load_b32 v19, v[19:20], off
	s_wait_alu 0xfffd
	v_add_co_ci_u32_e64 v18, null, 0, v18, vcc_lo
	v_add_co_u32 v15, s2, v15, 64
	s_wait_alu 0xf1ff
	v_add_co_ci_u32_e64 v16, null, 0, v16, s2
	s_delay_alu instid0(VALU_DEP_3) | instskip(SKIP_3) | instid1(VALU_DEP_1)
	v_cmp_le_i64_e32 vcc_lo, s[14:15], v[17:18]
	s_or_b32 s30, vcc_lo, s30
	s_wait_loadcnt 0x0
	v_fmac_f32_e32 v24, v19, v25
	v_dual_fmac_f32 v23, 0, v25 :: v_dual_fmac_f32 v24, 0x80000000, v26
	s_delay_alu instid0(VALU_DEP_1)
	v_fmac_f32_e32 v23, v19, v26
	s_and_not1_b32 exec_lo, exec_lo, s30
	s_cbranch_execz .LBB78_10
.LBB78_15:                              ;   Parent Loop BB78_8 Depth=1
                                        ;     Parent Loop BB78_12 Depth=2
                                        ; =>    This Inner Loop Header: Depth=3
	s_and_b32 vcc_lo, exec_lo, s3
	s_wait_alu 0xfffe
	s_cbranch_vccz .LBB78_17
; %bb.16:                               ;   in Loop: Header=BB78_15 Depth=3
	v_add_co_u32 v19, vcc_lo, v17, s24
	s_wait_alu 0xfffd
	v_add_co_ci_u32_e64 v20, null, s25, v18, vcc_lo
	s_delay_alu instid0(VALU_DEP_2) | instskip(NEXT) | instid1(VALU_DEP_2)
	v_mul_lo_u32 v25, v19, s15
	v_mul_lo_u32 v26, v20, s14
	v_mad_co_u64_u32 v[19:20], null, v19, s14, v[5:6]
	s_delay_alu instid0(VALU_DEP_1)
	v_add3_u32 v20, v26, v20, v25
	s_cbranch_execnz .LBB78_14
	s_branch .LBB78_18
.LBB78_17:                              ;   in Loop: Header=BB78_15 Depth=3
                                        ; implicit-def: $vgpr19_vgpr20
.LBB78_18:                              ;   in Loop: Header=BB78_15 Depth=3
	v_add_co_u32 v19, vcc_lo, v13, v17
	s_wait_alu 0xfffd
	v_add_co_ci_u32_e64 v20, null, v14, v18, vcc_lo
	s_branch .LBB78_14
.LBB78_19:                              ;   in Loop: Header=BB78_8 Depth=1
	ds_bpermute_b32 v13, v0, v24
	s_wait_dscnt 0x2
	ds_bpermute_b32 v14, v0, v23
	s_wait_dscnt 0x0
	v_dual_add_f32 v13, v24, v13 :: v_dual_add_f32 v14, v23, v14
	ds_bpermute_b32 v15, v21, v13
	ds_bpermute_b32 v16, v21, v14
	s_wait_dscnt 0x1
	v_add_f32_e32 v13, v13, v15
	s_wait_dscnt 0x0
	v_add_f32_e32 v15, v14, v16
	ds_bpermute_b32 v14, v22, v13
	ds_bpermute_b32 v16, v22, v15
	s_and_saveexec_b32 s2, s1
	s_cbranch_execz .LBB78_7
; %bb.20:                               ;   in Loop: Header=BB78_8 Depth=1
	s_wait_dscnt 0x1
	v_add_f32_e32 v17, v13, v14
	s_wait_dscnt 0x0
	v_add_f32_e32 v15, v15, v16
	s_delay_alu instid0(VALU_DEP_1) | instskip(NEXT) | instid1(VALU_DEP_1)
	v_mul_f32_e32 v14, v1, v15
	v_fmac_f32_e32 v14, v2, v17
	v_mul_f32_e64 v13, v15, -v2
	v_lshlrev_b64_e32 v[15:16], 3, v[5:6]
	s_delay_alu instid0(VALU_DEP_2)
	v_fmac_f32_e32 v13, v1, v17
	s_and_saveexec_b32 s22, s27
	s_wait_alu 0xfffe
	s_xor_b32 s22, exec_lo, s22
	s_cbranch_execz .LBB78_22
; %bb.21:                               ;   in Loop: Header=BB78_8 Depth=1
	v_add_co_u32 v15, vcc_lo, s16, v15
	s_wait_alu 0xfffd
	v_add_co_ci_u32_e64 v16, null, s17, v16, vcc_lo
	global_store_b64 v[15:16], v[13:14], off
                                        ; implicit-def: $vgpr15_vgpr16
                                        ; implicit-def: $vgpr13
.LBB78_22:                              ;   in Loop: Header=BB78_8 Depth=1
	s_wait_alu 0xfffe
	s_and_not1_saveexec_b32 s22, s22
	s_cbranch_execz .LBB78_7
; %bb.23:                               ;   in Loop: Header=BB78_8 Depth=1
	v_add_co_u32 v15, vcc_lo, s16, v15
	s_wait_alu 0xfffd
	v_add_co_ci_u32_e64 v16, null, s17, v16, vcc_lo
	global_load_b64 v[17:18], v[15:16], off
	s_wait_loadcnt 0x0
	v_fmac_f32_e32 v13, v3, v17
	v_fmac_f32_e32 v14, v4, v17
	s_delay_alu instid0(VALU_DEP_2) | instskip(NEXT) | instid1(VALU_DEP_2)
	v_fma_f32 v13, -v4, v18, v13
	v_fmac_f32_e32 v14, v3, v18
	global_store_b64 v[15:16], v[13:14], off
	s_branch .LBB78_7
.LBB78_24:
	s_endpgm
	.section	.rodata,"a",@progbits
	.p2align	6, 0x0
	.amdhsa_kernel _ZN9rocsparseL22bsrxmvn_general_kernelILj64ELj8E21rocsparse_complex_numIfEllfS2_S2_EEv20rocsparse_direction_NS_24const_host_device_scalarIT1_EET3_PKS7_PKT2_SC_S9_PKT4_S7_PKT5_S6_PT6_21rocsparse_index_base_b
		.amdhsa_group_segment_fixed_size 0
		.amdhsa_private_segment_fixed_size 0
		.amdhsa_kernarg_size 104
		.amdhsa_user_sgpr_count 2
		.amdhsa_user_sgpr_dispatch_ptr 0
		.amdhsa_user_sgpr_queue_ptr 0
		.amdhsa_user_sgpr_kernarg_segment_ptr 1
		.amdhsa_user_sgpr_dispatch_id 0
		.amdhsa_user_sgpr_private_segment_size 0
		.amdhsa_wavefront_size32 1
		.amdhsa_uses_dynamic_stack 0
		.amdhsa_enable_private_segment 0
		.amdhsa_system_sgpr_workgroup_id_x 1
		.amdhsa_system_sgpr_workgroup_id_y 0
		.amdhsa_system_sgpr_workgroup_id_z 0
		.amdhsa_system_sgpr_workgroup_info 0
		.amdhsa_system_vgpr_workitem_id 0
		.amdhsa_next_free_vgpr 27
		.amdhsa_next_free_sgpr 31
		.amdhsa_reserve_vcc 1
		.amdhsa_float_round_mode_32 0
		.amdhsa_float_round_mode_16_64 0
		.amdhsa_float_denorm_mode_32 3
		.amdhsa_float_denorm_mode_16_64 3
		.amdhsa_fp16_overflow 0
		.amdhsa_workgroup_processor_mode 1
		.amdhsa_memory_ordered 1
		.amdhsa_forward_progress 1
		.amdhsa_inst_pref_size 12
		.amdhsa_round_robin_scheduling 0
		.amdhsa_exception_fp_ieee_invalid_op 0
		.amdhsa_exception_fp_denorm_src 0
		.amdhsa_exception_fp_ieee_div_zero 0
		.amdhsa_exception_fp_ieee_overflow 0
		.amdhsa_exception_fp_ieee_underflow 0
		.amdhsa_exception_fp_ieee_inexact 0
		.amdhsa_exception_int_div_zero 0
	.end_amdhsa_kernel
	.section	.text._ZN9rocsparseL22bsrxmvn_general_kernelILj64ELj8E21rocsparse_complex_numIfEllfS2_S2_EEv20rocsparse_direction_NS_24const_host_device_scalarIT1_EET3_PKS7_PKT2_SC_S9_PKT4_S7_PKT5_S6_PT6_21rocsparse_index_base_b,"axG",@progbits,_ZN9rocsparseL22bsrxmvn_general_kernelILj64ELj8E21rocsparse_complex_numIfEllfS2_S2_EEv20rocsparse_direction_NS_24const_host_device_scalarIT1_EET3_PKS7_PKT2_SC_S9_PKT4_S7_PKT5_S6_PT6_21rocsparse_index_base_b,comdat
.Lfunc_end78:
	.size	_ZN9rocsparseL22bsrxmvn_general_kernelILj64ELj8E21rocsparse_complex_numIfEllfS2_S2_EEv20rocsparse_direction_NS_24const_host_device_scalarIT1_EET3_PKS7_PKT2_SC_S9_PKT4_S7_PKT5_S6_PT6_21rocsparse_index_base_b, .Lfunc_end78-_ZN9rocsparseL22bsrxmvn_general_kernelILj64ELj8E21rocsparse_complex_numIfEllfS2_S2_EEv20rocsparse_direction_NS_24const_host_device_scalarIT1_EET3_PKS7_PKT2_SC_S9_PKT4_S7_PKT5_S6_PT6_21rocsparse_index_base_b
                                        ; -- End function
	.set _ZN9rocsparseL22bsrxmvn_general_kernelILj64ELj8E21rocsparse_complex_numIfEllfS2_S2_EEv20rocsparse_direction_NS_24const_host_device_scalarIT1_EET3_PKS7_PKT2_SC_S9_PKT4_S7_PKT5_S6_PT6_21rocsparse_index_base_b.num_vgpr, 27
	.set _ZN9rocsparseL22bsrxmvn_general_kernelILj64ELj8E21rocsparse_complex_numIfEllfS2_S2_EEv20rocsparse_direction_NS_24const_host_device_scalarIT1_EET3_PKS7_PKT2_SC_S9_PKT4_S7_PKT5_S6_PT6_21rocsparse_index_base_b.num_agpr, 0
	.set _ZN9rocsparseL22bsrxmvn_general_kernelILj64ELj8E21rocsparse_complex_numIfEllfS2_S2_EEv20rocsparse_direction_NS_24const_host_device_scalarIT1_EET3_PKS7_PKT2_SC_S9_PKT4_S7_PKT5_S6_PT6_21rocsparse_index_base_b.numbered_sgpr, 31
	.set _ZN9rocsparseL22bsrxmvn_general_kernelILj64ELj8E21rocsparse_complex_numIfEllfS2_S2_EEv20rocsparse_direction_NS_24const_host_device_scalarIT1_EET3_PKS7_PKT2_SC_S9_PKT4_S7_PKT5_S6_PT6_21rocsparse_index_base_b.num_named_barrier, 0
	.set _ZN9rocsparseL22bsrxmvn_general_kernelILj64ELj8E21rocsparse_complex_numIfEllfS2_S2_EEv20rocsparse_direction_NS_24const_host_device_scalarIT1_EET3_PKS7_PKT2_SC_S9_PKT4_S7_PKT5_S6_PT6_21rocsparse_index_base_b.private_seg_size, 0
	.set _ZN9rocsparseL22bsrxmvn_general_kernelILj64ELj8E21rocsparse_complex_numIfEllfS2_S2_EEv20rocsparse_direction_NS_24const_host_device_scalarIT1_EET3_PKS7_PKT2_SC_S9_PKT4_S7_PKT5_S6_PT6_21rocsparse_index_base_b.uses_vcc, 1
	.set _ZN9rocsparseL22bsrxmvn_general_kernelILj64ELj8E21rocsparse_complex_numIfEllfS2_S2_EEv20rocsparse_direction_NS_24const_host_device_scalarIT1_EET3_PKS7_PKT2_SC_S9_PKT4_S7_PKT5_S6_PT6_21rocsparse_index_base_b.uses_flat_scratch, 0
	.set _ZN9rocsparseL22bsrxmvn_general_kernelILj64ELj8E21rocsparse_complex_numIfEllfS2_S2_EEv20rocsparse_direction_NS_24const_host_device_scalarIT1_EET3_PKS7_PKT2_SC_S9_PKT4_S7_PKT5_S6_PT6_21rocsparse_index_base_b.has_dyn_sized_stack, 0
	.set _ZN9rocsparseL22bsrxmvn_general_kernelILj64ELj8E21rocsparse_complex_numIfEllfS2_S2_EEv20rocsparse_direction_NS_24const_host_device_scalarIT1_EET3_PKS7_PKT2_SC_S9_PKT4_S7_PKT5_S6_PT6_21rocsparse_index_base_b.has_recursion, 0
	.set _ZN9rocsparseL22bsrxmvn_general_kernelILj64ELj8E21rocsparse_complex_numIfEllfS2_S2_EEv20rocsparse_direction_NS_24const_host_device_scalarIT1_EET3_PKS7_PKT2_SC_S9_PKT4_S7_PKT5_S6_PT6_21rocsparse_index_base_b.has_indirect_call, 0
	.section	.AMDGPU.csdata,"",@progbits
; Kernel info:
; codeLenInByte = 1476
; TotalNumSgprs: 33
; NumVgprs: 27
; ScratchSize: 0
; MemoryBound: 0
; FloatMode: 240
; IeeeMode: 1
; LDSByteSize: 0 bytes/workgroup (compile time only)
; SGPRBlocks: 0
; VGPRBlocks: 3
; NumSGPRsForWavesPerEU: 33
; NumVGPRsForWavesPerEU: 27
; Occupancy: 16
; WaveLimiterHint : 0
; COMPUTE_PGM_RSRC2:SCRATCH_EN: 0
; COMPUTE_PGM_RSRC2:USER_SGPR: 2
; COMPUTE_PGM_RSRC2:TRAP_HANDLER: 0
; COMPUTE_PGM_RSRC2:TGID_X_EN: 1
; COMPUTE_PGM_RSRC2:TGID_Y_EN: 0
; COMPUTE_PGM_RSRC2:TGID_Z_EN: 0
; COMPUTE_PGM_RSRC2:TIDIG_COMP_CNT: 0
	.section	.text._ZN9rocsparseL22bsrxmvn_general_kernelILj256ELj16E21rocsparse_complex_numIfEllfS2_S2_EEv20rocsparse_direction_NS_24const_host_device_scalarIT1_EET3_PKS7_PKT2_SC_S9_PKT4_S7_PKT5_S6_PT6_21rocsparse_index_base_b,"axG",@progbits,_ZN9rocsparseL22bsrxmvn_general_kernelILj256ELj16E21rocsparse_complex_numIfEllfS2_S2_EEv20rocsparse_direction_NS_24const_host_device_scalarIT1_EET3_PKS7_PKT2_SC_S9_PKT4_S7_PKT5_S6_PT6_21rocsparse_index_base_b,comdat
	.globl	_ZN9rocsparseL22bsrxmvn_general_kernelILj256ELj16E21rocsparse_complex_numIfEllfS2_S2_EEv20rocsparse_direction_NS_24const_host_device_scalarIT1_EET3_PKS7_PKT2_SC_S9_PKT4_S7_PKT5_S6_PT6_21rocsparse_index_base_b ; -- Begin function _ZN9rocsparseL22bsrxmvn_general_kernelILj256ELj16E21rocsparse_complex_numIfEllfS2_S2_EEv20rocsparse_direction_NS_24const_host_device_scalarIT1_EET3_PKS7_PKT2_SC_S9_PKT4_S7_PKT5_S6_PT6_21rocsparse_index_base_b
	.p2align	8
	.type	_ZN9rocsparseL22bsrxmvn_general_kernelILj256ELj16E21rocsparse_complex_numIfEllfS2_S2_EEv20rocsparse_direction_NS_24const_host_device_scalarIT1_EET3_PKS7_PKT2_SC_S9_PKT4_S7_PKT5_S6_PT6_21rocsparse_index_base_b,@function
_ZN9rocsparseL22bsrxmvn_general_kernelILj256ELj16E21rocsparse_complex_numIfEllfS2_S2_EEv20rocsparse_direction_NS_24const_host_device_scalarIT1_EET3_PKS7_PKT2_SC_S9_PKT4_S7_PKT5_S6_PT6_21rocsparse_index_base_b: ; @_ZN9rocsparseL22bsrxmvn_general_kernelILj256ELj16E21rocsparse_complex_numIfEllfS2_S2_EEv20rocsparse_direction_NS_24const_host_device_scalarIT1_EET3_PKS7_PKT2_SC_S9_PKT4_S7_PKT5_S6_PT6_21rocsparse_index_base_b
; %bb.0:
	s_clause 0x2
	s_load_b64 s[12:13], s[0:1], 0x60
	s_load_b64 s[2:3], s[0:1], 0x8
	;; [unrolled: 1-line block ×3, first 2 shown]
	s_add_nc_u64 s[6:7], s[0:1], 8
	s_wait_kmcnt 0x0
	s_bitcmp1_b32 s13, 0
	s_cselect_b32 s2, s6, s2
	s_cselect_b32 s3, s7, s3
	s_delay_alu instid0(SALU_CYCLE_1)
	v_dual_mov_b32 v1, s2 :: v_dual_mov_b32 v2, s3
	s_add_nc_u64 s[2:3], s[0:1], 0x50
	s_wait_alu 0xfffe
	s_cselect_b32 s2, s2, s4
	s_cselect_b32 s3, s3, s5
	flat_load_b64 v[1:2], v[1:2]
	s_wait_alu 0xfffe
	v_dual_mov_b32 v3, s2 :: v_dual_mov_b32 v4, s3
	flat_load_b64 v[3:4], v[3:4]
	s_wait_loadcnt_dscnt 0x101
	v_cmp_eq_f32_e32 vcc_lo, 0, v1
	v_cmp_eq_f32_e64 s2, 0, v2
	s_and_b32 s4, vcc_lo, s2
	s_mov_b32 s2, -1
	s_and_saveexec_b32 s3, s4
	s_cbranch_execz .LBB79_2
; %bb.1:
	s_wait_loadcnt_dscnt 0x0
	v_cmp_neq_f32_e32 vcc_lo, 1.0, v3
	v_cmp_neq_f32_e64 s2, 0, v4
	s_wait_alu 0xfffe
	s_or_b32 s2, vcc_lo, s2
	s_wait_alu 0xfffe
	s_or_not1_b32 s2, s2, exec_lo
.LBB79_2:
	s_wait_alu 0xfffe
	s_or_b32 exec_lo, exec_lo, s3
	s_and_saveexec_b32 s3, s2
	s_cbranch_execz .LBB79_24
; %bb.3:
	s_load_b64 s[2:3], s[0:1], 0x18
	s_mov_b32 s17, 0
	s_mov_b32 s16, ttmp9
	s_mov_b32 s13, s17
	s_wait_kmcnt 0x0
	s_cmp_eq_u64 s[2:3], 0
	s_cbranch_scc1 .LBB79_5
; %bb.4:
	s_lshl_b64 s[4:5], s[16:17], 3
	s_delay_alu instid0(SALU_CYCLE_1)
	s_add_nc_u64 s[2:3], s[2:3], s[4:5]
	s_load_b64 s[2:3], s[2:3], 0x0
	s_wait_kmcnt 0x0
	s_sub_nc_u64 s[16:17], s[2:3], s[12:13]
.LBB79_5:
	s_load_b64 s[14:15], s[0:1], 0x40
	v_lshrrev_b32_e32 v5, 4, v0
	v_mov_b32_e32 v6, 0
	s_wait_kmcnt 0x0
	s_delay_alu instid0(VALU_DEP_1)
	v_cmp_gt_i64_e32 vcc_lo, s[14:15], v[5:6]
	s_and_b32 exec_lo, exec_lo, vcc_lo
	s_cbranch_execz .LBB79_24
; %bb.6:
	s_clause 0x2
	s_load_b256 s[4:11], s[0:1], 0x20
	s_load_b64 s[18:19], s[0:1], 0x48
	s_load_b64 s[20:21], s[0:1], 0x58
	v_dual_mov_b32 v8, v6 :: v_dual_and_b32 v7, 15, v0
	v_mbcnt_lo_u32_b32 v0, -1, 0
	s_lshl_b64 s[22:23], s[16:17], 3
	s_load_b32 s26, s[0:1], 0x0
	s_delay_alu instid0(VALU_DEP_2)
	v_lshlrev_b32_e32 v13, 3, v7
	s_wait_loadcnt_dscnt 0x0
	v_cmp_eq_f32_e32 vcc_lo, 0, v3
	v_xor_b32_e32 v9, 8, v0
	v_xor_b32_e32 v10, 4, v0
	;; [unrolled: 1-line block ×4, first 2 shown]
	v_cmp_eq_f32_e64 s2, 0, v4
	v_cmp_gt_i32_e64 s3, 32, v9
	s_mul_u64 s[16:17], s[16:17], s[14:15]
	v_cmp_gt_u64_e64 s0, s[14:15], v[7:8]
	v_cmp_eq_u32_e64 s1, 15, v7
	s_mov_b32 s28, 0
	s_wait_kmcnt 0x0
	s_add_nc_u64 s[4:5], s[4:5], s[22:23]
	v_cndmask_b32_e64 v9, v0, v9, s3
	s_load_b64 s[24:25], s[4:5], 0x0
	v_cmp_gt_i32_e64 s3, 32, v10
	s_add_nc_u64 s[22:23], s[6:7], s[22:23]
	s_cmp_eq_u64 s[6:7], 0
	s_add_nc_u64 s[4:5], s[4:5], 8
	s_wait_alu 0xf1ff
	v_cndmask_b32_e64 v10, v0, v10, s3
	v_cmp_gt_i32_e64 s3, 32, v11
	s_cselect_b32 s7, s5, s23
	s_cselect_b32 s6, s4, s22
	s_cmp_lg_u32 s26, 0
	v_lshlrev_b32_e32 v21, 2, v10
	s_wait_alu 0xf1ff
	v_cndmask_b32_e64 v11, v0, v11, s3
	v_cmp_gt_i32_e64 s3, 32, v12
	s_load_b64 s[22:23], s[6:7], 0x0
	v_lshlrev_b32_e32 v22, 2, v11
	v_cndmask_b32_e64 v12, v0, v12, s3
	v_lshlrev_b32_e32 v0, 2, v9
	s_wait_kmcnt 0x0
	s_sub_nc_u64 s[4:5], s[24:25], s[12:13]
	v_add_co_u32 v11, s7, s18, v13
	v_mad_co_u64_u32 v[9:10], null, s14, s4, v[5:6]
	s_mul_i32 s3, s15, s4
	s_mul_i32 s6, s14, s5
	v_lshlrev_b32_e32 v23, 2, v12
	v_add_co_ci_u32_e64 v12, null, s19, 0, s7
	s_wait_alu 0xfffe
	v_add3_u32 v13, s6, s3, v10
	v_mul_lo_u32 v14, s15, v9
	v_mad_co_u64_u32 v[9:10], null, s14, v9, 0
	v_add_co_u32 v11, s3, v11, 4
	s_delay_alu instid0(VALU_DEP_4)
	v_mul_lo_u32 v13, s14, v13
	v_cmp_lt_i64_e64 s30, s[24:25], s[22:23]
	s_wait_alu 0xf1ff
	v_add_co_ci_u32_e64 v12, null, 0, v12, s3
	s_cselect_b32 s3, -1, 0
	s_lshl_b64 s[6:7], s[16:17], 3
	s_and_b32 s29, vcc_lo, s2
	s_wait_alu 0xfffe
	s_add_nc_u64 s[6:7], s[20:21], s[6:7]
	v_add3_u32 v10, v10, v13, v14
	s_sub_nc_u64 s[16:17], s[22:23], s[12:13]
	s_lshl_b64 s[18:19], s[14:15], 3
	s_lshl_b64 s[20:21], s[14:15], 4
	s_mul_u64 s[22:23], s[14:15], s[14:15]
	s_branch .LBB79_8
.LBB79_7:                               ;   in Loop: Header=BB79_8 Depth=1
	s_wait_alu 0xfffe
	s_or_b32 exec_lo, exec_lo, s2
	v_add_co_u32 v5, vcc_lo, v5, 16
	s_wait_alu 0xfffd
	v_add_co_ci_u32_e64 v6, null, 0, v6, vcc_lo
	v_add_co_u32 v9, s2, v9, s20
	s_wait_alu 0xf1ff
	v_add_co_ci_u32_e64 v10, null, s21, v10, s2
	s_delay_alu instid0(VALU_DEP_3) | instskip(SKIP_1) | instid1(SALU_CYCLE_1)
	v_cmp_le_i64_e32 vcc_lo, s[14:15], v[5:6]
	s_or_b32 s28, vcc_lo, s28
	s_and_not1_b32 exec_lo, exec_lo, s28
	s_cbranch_execz .LBB79_24
.LBB79_8:                               ; =>This Loop Header: Depth=1
                                        ;     Child Loop BB79_12 Depth 2
                                        ;       Child Loop BB79_15 Depth 3
	v_dual_mov_b32 v24, 0 :: v_dual_mov_b32 v25, 0
	s_and_not1_b32 vcc_lo, exec_lo, s30
	s_wait_alu 0xfffe
	s_cbranch_vccnz .LBB79_19
; %bb.9:                                ;   in Loop: Header=BB79_8 Depth=1
	s_wait_dscnt 0x1
	v_dual_mov_b32 v14, v10 :: v_dual_mov_b32 v25, 0
	v_dual_mov_b32 v24, 0 :: v_dual_mov_b32 v13, v9
	s_mov_b64 s[24:25], s[4:5]
	s_branch .LBB79_12
.LBB79_10:                              ;   in Loop: Header=BB79_12 Depth=2
	s_or_b32 exec_lo, exec_lo, s33
.LBB79_11:                              ;   in Loop: Header=BB79_12 Depth=2
	s_delay_alu instid0(SALU_CYCLE_1)
	s_or_b32 exec_lo, exec_lo, s31
	s_wait_alu 0xfffe
	s_add_nc_u64 s[24:25], s[24:25], 1
	v_add_co_u32 v13, vcc_lo, v13, s22
	s_wait_alu 0xfffe
	v_cmp_ge_i64_e64 s2, s[24:25], s[16:17]
	s_wait_alu 0xfffd
	v_add_co_ci_u32_e64 v14, null, s23, v14, vcc_lo
	s_and_b32 vcc_lo, exec_lo, s2
	s_wait_alu 0xfffe
	s_cbranch_vccnz .LBB79_19
.LBB79_12:                              ;   Parent Loop BB79_8 Depth=1
                                        ; =>  This Loop Header: Depth=2
                                        ;       Child Loop BB79_15 Depth 3
	s_and_saveexec_b32 s31, s0
	s_cbranch_execz .LBB79_11
; %bb.13:                               ;   in Loop: Header=BB79_12 Depth=2
	s_wait_alu 0xfffe
	s_lshl_b64 s[26:27], s[24:25], 3
	v_dual_mov_b32 v18, v8 :: v_dual_mov_b32 v17, v7
	s_wait_alu 0xfffe
	s_add_nc_u64 s[26:27], s[8:9], s[26:27]
	s_mov_b32 s33, 0
	s_load_b64 s[26:27], s[26:27], 0x0
	s_wait_kmcnt 0x0
	s_sub_nc_u64 s[26:27], s[26:27], s[12:13]
	s_wait_dscnt 0x0
	s_wait_alu 0xfffe
	v_mad_co_u64_u32 v[15:16], null, s18, s26, v[11:12]
	s_mul_i32 s2, s19, s26
	s_mul_i32 s26, s18, s27
	s_wait_alu 0xfffe
	v_add3_u32 v16, s26, s2, v16
	s_mul_u64 s[26:27], s[24:25], s[14:15]
	s_branch .LBB79_15
.LBB79_14:                              ;   in Loop: Header=BB79_15 Depth=3
	s_delay_alu instid0(VALU_DEP_1) | instskip(NEXT) | instid1(VALU_DEP_1)
	v_lshlrev_b64_e32 v[19:20], 2, v[19:20]
	v_add_co_u32 v19, vcc_lo, s10, v19
	s_wait_alu 0xfffd
	s_delay_alu instid0(VALU_DEP_2)
	v_add_co_ci_u32_e64 v20, null, s11, v20, vcc_lo
	v_add_co_u32 v17, vcc_lo, v17, 16
	global_load_b64 v[26:27], v[15:16], off offset:-4
	global_load_b32 v19, v[19:20], off
	s_wait_alu 0xfffd
	v_add_co_ci_u32_e64 v18, null, 0, v18, vcc_lo
	v_add_co_u32 v15, s2, 0x80, v15
	s_wait_alu 0xf1ff
	v_add_co_ci_u32_e64 v16, null, 0, v16, s2
	s_delay_alu instid0(VALU_DEP_3) | instskip(SKIP_3) | instid1(VALU_DEP_1)
	v_cmp_le_i64_e32 vcc_lo, s[14:15], v[17:18]
	s_or_b32 s33, vcc_lo, s33
	s_wait_loadcnt 0x0
	v_fmac_f32_e32 v25, v19, v26
	v_dual_fmac_f32 v24, 0, v26 :: v_dual_fmac_f32 v25, 0x80000000, v27
	s_delay_alu instid0(VALU_DEP_1)
	v_fmac_f32_e32 v24, v19, v27
	s_and_not1_b32 exec_lo, exec_lo, s33
	s_cbranch_execz .LBB79_10
.LBB79_15:                              ;   Parent Loop BB79_8 Depth=1
                                        ;     Parent Loop BB79_12 Depth=2
                                        ; =>    This Inner Loop Header: Depth=3
	s_and_b32 vcc_lo, exec_lo, s3
	s_wait_alu 0xfffe
	s_cbranch_vccz .LBB79_17
; %bb.16:                               ;   in Loop: Header=BB79_15 Depth=3
	v_add_co_u32 v19, vcc_lo, v17, s26
	s_wait_alu 0xfffd
	v_add_co_ci_u32_e64 v20, null, s27, v18, vcc_lo
	s_delay_alu instid0(VALU_DEP_2) | instskip(NEXT) | instid1(VALU_DEP_2)
	v_mul_lo_u32 v26, v19, s15
	v_mul_lo_u32 v27, v20, s14
	v_mad_co_u64_u32 v[19:20], null, v19, s14, v[5:6]
	s_delay_alu instid0(VALU_DEP_1)
	v_add3_u32 v20, v27, v20, v26
	s_cbranch_execnz .LBB79_14
	s_branch .LBB79_18
.LBB79_17:                              ;   in Loop: Header=BB79_15 Depth=3
                                        ; implicit-def: $vgpr19_vgpr20
.LBB79_18:                              ;   in Loop: Header=BB79_15 Depth=3
	v_add_co_u32 v19, vcc_lo, v13, v17
	s_wait_alu 0xfffd
	v_add_co_ci_u32_e64 v20, null, v14, v18, vcc_lo
	s_branch .LBB79_14
.LBB79_19:                              ;   in Loop: Header=BB79_8 Depth=1
	ds_bpermute_b32 v13, v0, v25
	s_wait_dscnt 0x2
	ds_bpermute_b32 v14, v0, v24
	s_wait_dscnt 0x0
	v_dual_add_f32 v13, v25, v13 :: v_dual_add_f32 v14, v24, v14
	ds_bpermute_b32 v15, v21, v13
	ds_bpermute_b32 v16, v21, v14
	s_wait_dscnt 0x0
	v_dual_add_f32 v13, v13, v15 :: v_dual_add_f32 v14, v14, v16
	ds_bpermute_b32 v15, v22, v13
	ds_bpermute_b32 v16, v22, v14
	s_wait_dscnt 0x1
	v_add_f32_e32 v13, v13, v15
	s_wait_dscnt 0x0
	v_add_f32_e32 v15, v14, v16
	ds_bpermute_b32 v14, v23, v13
	ds_bpermute_b32 v16, v23, v15
	s_and_saveexec_b32 s2, s1
	s_cbranch_execz .LBB79_7
; %bb.20:                               ;   in Loop: Header=BB79_8 Depth=1
	s_wait_dscnt 0x1
	v_add_f32_e32 v17, v13, v14
	s_wait_dscnt 0x0
	v_add_f32_e32 v15, v15, v16
	s_delay_alu instid0(VALU_DEP_1) | instskip(NEXT) | instid1(VALU_DEP_1)
	v_mul_f32_e32 v14, v1, v15
	v_fmac_f32_e32 v14, v2, v17
	v_mul_f32_e64 v13, v15, -v2
	v_lshlrev_b64_e32 v[15:16], 3, v[5:6]
	s_delay_alu instid0(VALU_DEP_2)
	v_fmac_f32_e32 v13, v1, v17
	s_and_saveexec_b32 s24, s29
	s_wait_alu 0xfffe
	s_xor_b32 s24, exec_lo, s24
	s_cbranch_execz .LBB79_22
; %bb.21:                               ;   in Loop: Header=BB79_8 Depth=1
	v_add_co_u32 v15, vcc_lo, s6, v15
	s_wait_alu 0xfffd
	v_add_co_ci_u32_e64 v16, null, s7, v16, vcc_lo
	global_store_b64 v[15:16], v[13:14], off
                                        ; implicit-def: $vgpr15_vgpr16
                                        ; implicit-def: $vgpr13
.LBB79_22:                              ;   in Loop: Header=BB79_8 Depth=1
	s_wait_alu 0xfffe
	s_and_not1_saveexec_b32 s24, s24
	s_cbranch_execz .LBB79_7
; %bb.23:                               ;   in Loop: Header=BB79_8 Depth=1
	v_add_co_u32 v15, vcc_lo, s6, v15
	s_wait_alu 0xfffd
	v_add_co_ci_u32_e64 v16, null, s7, v16, vcc_lo
	global_load_b64 v[17:18], v[15:16], off
	s_wait_loadcnt 0x0
	v_fmac_f32_e32 v13, v3, v17
	v_fmac_f32_e32 v14, v4, v17
	s_delay_alu instid0(VALU_DEP_2) | instskip(NEXT) | instid1(VALU_DEP_2)
	v_fma_f32 v13, -v4, v18, v13
	v_fmac_f32_e32 v14, v3, v18
	global_store_b64 v[15:16], v[13:14], off
	s_branch .LBB79_7
.LBB79_24:
	s_endpgm
	.section	.rodata,"a",@progbits
	.p2align	6, 0x0
	.amdhsa_kernel _ZN9rocsparseL22bsrxmvn_general_kernelILj256ELj16E21rocsparse_complex_numIfEllfS2_S2_EEv20rocsparse_direction_NS_24const_host_device_scalarIT1_EET3_PKS7_PKT2_SC_S9_PKT4_S7_PKT5_S6_PT6_21rocsparse_index_base_b
		.amdhsa_group_segment_fixed_size 0
		.amdhsa_private_segment_fixed_size 0
		.amdhsa_kernarg_size 104
		.amdhsa_user_sgpr_count 2
		.amdhsa_user_sgpr_dispatch_ptr 0
		.amdhsa_user_sgpr_queue_ptr 0
		.amdhsa_user_sgpr_kernarg_segment_ptr 1
		.amdhsa_user_sgpr_dispatch_id 0
		.amdhsa_user_sgpr_private_segment_size 0
		.amdhsa_wavefront_size32 1
		.amdhsa_uses_dynamic_stack 0
		.amdhsa_enable_private_segment 0
		.amdhsa_system_sgpr_workgroup_id_x 1
		.amdhsa_system_sgpr_workgroup_id_y 0
		.amdhsa_system_sgpr_workgroup_id_z 0
		.amdhsa_system_sgpr_workgroup_info 0
		.amdhsa_system_vgpr_workitem_id 0
		.amdhsa_next_free_vgpr 28
		.amdhsa_next_free_sgpr 34
		.amdhsa_reserve_vcc 1
		.amdhsa_float_round_mode_32 0
		.amdhsa_float_round_mode_16_64 0
		.amdhsa_float_denorm_mode_32 3
		.amdhsa_float_denorm_mode_16_64 3
		.amdhsa_fp16_overflow 0
		.amdhsa_workgroup_processor_mode 1
		.amdhsa_memory_ordered 1
		.amdhsa_forward_progress 1
		.amdhsa_inst_pref_size 12
		.amdhsa_round_robin_scheduling 0
		.amdhsa_exception_fp_ieee_invalid_op 0
		.amdhsa_exception_fp_denorm_src 0
		.amdhsa_exception_fp_ieee_div_zero 0
		.amdhsa_exception_fp_ieee_overflow 0
		.amdhsa_exception_fp_ieee_underflow 0
		.amdhsa_exception_fp_ieee_inexact 0
		.amdhsa_exception_int_div_zero 0
	.end_amdhsa_kernel
	.section	.text._ZN9rocsparseL22bsrxmvn_general_kernelILj256ELj16E21rocsparse_complex_numIfEllfS2_S2_EEv20rocsparse_direction_NS_24const_host_device_scalarIT1_EET3_PKS7_PKT2_SC_S9_PKT4_S7_PKT5_S6_PT6_21rocsparse_index_base_b,"axG",@progbits,_ZN9rocsparseL22bsrxmvn_general_kernelILj256ELj16E21rocsparse_complex_numIfEllfS2_S2_EEv20rocsparse_direction_NS_24const_host_device_scalarIT1_EET3_PKS7_PKT2_SC_S9_PKT4_S7_PKT5_S6_PT6_21rocsparse_index_base_b,comdat
.Lfunc_end79:
	.size	_ZN9rocsparseL22bsrxmvn_general_kernelILj256ELj16E21rocsparse_complex_numIfEllfS2_S2_EEv20rocsparse_direction_NS_24const_host_device_scalarIT1_EET3_PKS7_PKT2_SC_S9_PKT4_S7_PKT5_S6_PT6_21rocsparse_index_base_b, .Lfunc_end79-_ZN9rocsparseL22bsrxmvn_general_kernelILj256ELj16E21rocsparse_complex_numIfEllfS2_S2_EEv20rocsparse_direction_NS_24const_host_device_scalarIT1_EET3_PKS7_PKT2_SC_S9_PKT4_S7_PKT5_S6_PT6_21rocsparse_index_base_b
                                        ; -- End function
	.set _ZN9rocsparseL22bsrxmvn_general_kernelILj256ELj16E21rocsparse_complex_numIfEllfS2_S2_EEv20rocsparse_direction_NS_24const_host_device_scalarIT1_EET3_PKS7_PKT2_SC_S9_PKT4_S7_PKT5_S6_PT6_21rocsparse_index_base_b.num_vgpr, 28
	.set _ZN9rocsparseL22bsrxmvn_general_kernelILj256ELj16E21rocsparse_complex_numIfEllfS2_S2_EEv20rocsparse_direction_NS_24const_host_device_scalarIT1_EET3_PKS7_PKT2_SC_S9_PKT4_S7_PKT5_S6_PT6_21rocsparse_index_base_b.num_agpr, 0
	.set _ZN9rocsparseL22bsrxmvn_general_kernelILj256ELj16E21rocsparse_complex_numIfEllfS2_S2_EEv20rocsparse_direction_NS_24const_host_device_scalarIT1_EET3_PKS7_PKT2_SC_S9_PKT4_S7_PKT5_S6_PT6_21rocsparse_index_base_b.numbered_sgpr, 34
	.set _ZN9rocsparseL22bsrxmvn_general_kernelILj256ELj16E21rocsparse_complex_numIfEllfS2_S2_EEv20rocsparse_direction_NS_24const_host_device_scalarIT1_EET3_PKS7_PKT2_SC_S9_PKT4_S7_PKT5_S6_PT6_21rocsparse_index_base_b.num_named_barrier, 0
	.set _ZN9rocsparseL22bsrxmvn_general_kernelILj256ELj16E21rocsparse_complex_numIfEllfS2_S2_EEv20rocsparse_direction_NS_24const_host_device_scalarIT1_EET3_PKS7_PKT2_SC_S9_PKT4_S7_PKT5_S6_PT6_21rocsparse_index_base_b.private_seg_size, 0
	.set _ZN9rocsparseL22bsrxmvn_general_kernelILj256ELj16E21rocsparse_complex_numIfEllfS2_S2_EEv20rocsparse_direction_NS_24const_host_device_scalarIT1_EET3_PKS7_PKT2_SC_S9_PKT4_S7_PKT5_S6_PT6_21rocsparse_index_base_b.uses_vcc, 1
	.set _ZN9rocsparseL22bsrxmvn_general_kernelILj256ELj16E21rocsparse_complex_numIfEllfS2_S2_EEv20rocsparse_direction_NS_24const_host_device_scalarIT1_EET3_PKS7_PKT2_SC_S9_PKT4_S7_PKT5_S6_PT6_21rocsparse_index_base_b.uses_flat_scratch, 0
	.set _ZN9rocsparseL22bsrxmvn_general_kernelILj256ELj16E21rocsparse_complex_numIfEllfS2_S2_EEv20rocsparse_direction_NS_24const_host_device_scalarIT1_EET3_PKS7_PKT2_SC_S9_PKT4_S7_PKT5_S6_PT6_21rocsparse_index_base_b.has_dyn_sized_stack, 0
	.set _ZN9rocsparseL22bsrxmvn_general_kernelILj256ELj16E21rocsparse_complex_numIfEllfS2_S2_EEv20rocsparse_direction_NS_24const_host_device_scalarIT1_EET3_PKS7_PKT2_SC_S9_PKT4_S7_PKT5_S6_PT6_21rocsparse_index_base_b.has_recursion, 0
	.set _ZN9rocsparseL22bsrxmvn_general_kernelILj256ELj16E21rocsparse_complex_numIfEllfS2_S2_EEv20rocsparse_direction_NS_24const_host_device_scalarIT1_EET3_PKS7_PKT2_SC_S9_PKT4_S7_PKT5_S6_PT6_21rocsparse_index_base_b.has_indirect_call, 0
	.section	.AMDGPU.csdata,"",@progbits
; Kernel info:
; codeLenInByte = 1536
; TotalNumSgprs: 36
; NumVgprs: 28
; ScratchSize: 0
; MemoryBound: 0
; FloatMode: 240
; IeeeMode: 1
; LDSByteSize: 0 bytes/workgroup (compile time only)
; SGPRBlocks: 0
; VGPRBlocks: 3
; NumSGPRsForWavesPerEU: 36
; NumVGPRsForWavesPerEU: 28
; Occupancy: 16
; WaveLimiterHint : 0
; COMPUTE_PGM_RSRC2:SCRATCH_EN: 0
; COMPUTE_PGM_RSRC2:USER_SGPR: 2
; COMPUTE_PGM_RSRC2:TRAP_HANDLER: 0
; COMPUTE_PGM_RSRC2:TGID_X_EN: 1
; COMPUTE_PGM_RSRC2:TGID_Y_EN: 0
; COMPUTE_PGM_RSRC2:TGID_Z_EN: 0
; COMPUTE_PGM_RSRC2:TIDIG_COMP_CNT: 0
	.section	.text._ZN9rocsparseL22bsrxmvn_general_kernelILj1024ELj32E21rocsparse_complex_numIfEllfS2_S2_EEv20rocsparse_direction_NS_24const_host_device_scalarIT1_EET3_PKS7_PKT2_SC_S9_PKT4_S7_PKT5_S6_PT6_21rocsparse_index_base_b,"axG",@progbits,_ZN9rocsparseL22bsrxmvn_general_kernelILj1024ELj32E21rocsparse_complex_numIfEllfS2_S2_EEv20rocsparse_direction_NS_24const_host_device_scalarIT1_EET3_PKS7_PKT2_SC_S9_PKT4_S7_PKT5_S6_PT6_21rocsparse_index_base_b,comdat
	.globl	_ZN9rocsparseL22bsrxmvn_general_kernelILj1024ELj32E21rocsparse_complex_numIfEllfS2_S2_EEv20rocsparse_direction_NS_24const_host_device_scalarIT1_EET3_PKS7_PKT2_SC_S9_PKT4_S7_PKT5_S6_PT6_21rocsparse_index_base_b ; -- Begin function _ZN9rocsparseL22bsrxmvn_general_kernelILj1024ELj32E21rocsparse_complex_numIfEllfS2_S2_EEv20rocsparse_direction_NS_24const_host_device_scalarIT1_EET3_PKS7_PKT2_SC_S9_PKT4_S7_PKT5_S6_PT6_21rocsparse_index_base_b
	.p2align	8
	.type	_ZN9rocsparseL22bsrxmvn_general_kernelILj1024ELj32E21rocsparse_complex_numIfEllfS2_S2_EEv20rocsparse_direction_NS_24const_host_device_scalarIT1_EET3_PKS7_PKT2_SC_S9_PKT4_S7_PKT5_S6_PT6_21rocsparse_index_base_b,@function
_ZN9rocsparseL22bsrxmvn_general_kernelILj1024ELj32E21rocsparse_complex_numIfEllfS2_S2_EEv20rocsparse_direction_NS_24const_host_device_scalarIT1_EET3_PKS7_PKT2_SC_S9_PKT4_S7_PKT5_S6_PT6_21rocsparse_index_base_b: ; @_ZN9rocsparseL22bsrxmvn_general_kernelILj1024ELj32E21rocsparse_complex_numIfEllfS2_S2_EEv20rocsparse_direction_NS_24const_host_device_scalarIT1_EET3_PKS7_PKT2_SC_S9_PKT4_S7_PKT5_S6_PT6_21rocsparse_index_base_b
; %bb.0:
	s_clause 0x2
	s_load_b64 s[12:13], s[0:1], 0x60
	s_load_b64 s[2:3], s[0:1], 0x8
	;; [unrolled: 1-line block ×3, first 2 shown]
	s_add_nc_u64 s[6:7], s[0:1], 8
	s_wait_kmcnt 0x0
	s_bitcmp1_b32 s13, 0
	s_cselect_b32 s2, s6, s2
	s_cselect_b32 s3, s7, s3
	s_delay_alu instid0(SALU_CYCLE_1)
	v_dual_mov_b32 v1, s2 :: v_dual_mov_b32 v2, s3
	s_add_nc_u64 s[2:3], s[0:1], 0x50
	s_wait_alu 0xfffe
	s_cselect_b32 s2, s2, s4
	s_cselect_b32 s3, s3, s5
	flat_load_b64 v[1:2], v[1:2]
	s_wait_alu 0xfffe
	v_dual_mov_b32 v3, s2 :: v_dual_mov_b32 v4, s3
	flat_load_b64 v[3:4], v[3:4]
	s_wait_loadcnt_dscnt 0x101
	v_cmp_eq_f32_e32 vcc_lo, 0, v1
	v_cmp_eq_f32_e64 s2, 0, v2
	s_and_b32 s4, vcc_lo, s2
	s_mov_b32 s2, -1
	s_and_saveexec_b32 s3, s4
	s_cbranch_execz .LBB80_2
; %bb.1:
	s_wait_loadcnt_dscnt 0x0
	v_cmp_neq_f32_e32 vcc_lo, 1.0, v3
	v_cmp_neq_f32_e64 s2, 0, v4
	s_wait_alu 0xfffe
	s_or_b32 s2, vcc_lo, s2
	s_wait_alu 0xfffe
	s_or_not1_b32 s2, s2, exec_lo
.LBB80_2:
	s_wait_alu 0xfffe
	s_or_b32 exec_lo, exec_lo, s3
	s_and_saveexec_b32 s3, s2
	s_cbranch_execz .LBB80_24
; %bb.3:
	s_load_b64 s[2:3], s[0:1], 0x18
	s_mov_b32 s21, 0
	s_mov_b32 s20, ttmp9
	s_mov_b32 s13, s21
	s_wait_kmcnt 0x0
	s_cmp_eq_u64 s[2:3], 0
	s_cbranch_scc1 .LBB80_5
; %bb.4:
	s_lshl_b64 s[4:5], s[20:21], 3
	s_delay_alu instid0(SALU_CYCLE_1)
	s_add_nc_u64 s[2:3], s[2:3], s[4:5]
	s_load_b64 s[2:3], s[2:3], 0x0
	s_wait_kmcnt 0x0
	s_sub_nc_u64 s[20:21], s[2:3], s[12:13]
.LBB80_5:
	s_load_b64 s[14:15], s[0:1], 0x40
	v_lshrrev_b32_e32 v5, 5, v0
	v_mov_b32_e32 v6, 0
	s_wait_kmcnt 0x0
	s_delay_alu instid0(VALU_DEP_1)
	v_cmp_gt_i64_e32 vcc_lo, s[14:15], v[5:6]
	s_and_b32 exec_lo, exec_lo, vcc_lo
	s_cbranch_execz .LBB80_24
; %bb.6:
	s_clause 0x2
	s_load_b256 s[4:11], s[0:1], 0x20
	s_load_b64 s[16:17], s[0:1], 0x48
	s_load_b64 s[18:19], s[0:1], 0x58
	v_dual_mov_b32 v8, v6 :: v_dual_and_b32 v7, 31, v0
	v_mbcnt_lo_u32_b32 v0, -1, 0
	s_lshl_b64 s[22:23], s[20:21], 3
	s_load_b32 s26, s[0:1], 0x0
	s_wait_loadcnt_dscnt 0x0
	v_cmp_eq_f32_e32 vcc_lo, 0, v3
	v_cmp_eq_f32_e64 s2, 0, v4
	v_xor_b32_e32 v9, 16, v0
	v_xor_b32_e32 v10, 8, v0
	;; [unrolled: 1-line block ×5, first 2 shown]
	v_cmp_gt_i32_e64 s3, 32, v9
	v_lshlrev_b32_e32 v14, 3, v7
	s_mul_u64 s[20:21], s[20:21], s[14:15]
	v_cmp_gt_u64_e64 s0, s[14:15], v[7:8]
	v_cmp_eq_u32_e64 s1, 31, v7
	s_wait_kmcnt 0x0
	s_add_nc_u64 s[4:5], s[4:5], s[22:23]
	v_cndmask_b32_e64 v9, v0, v9, s3
	s_load_b64 s[24:25], s[4:5], 0x0
	v_cmp_gt_i32_e64 s3, 32, v10
	s_add_nc_u64 s[22:23], s[6:7], s[22:23]
	s_cmp_eq_u64 s[6:7], 0
	s_add_nc_u64 s[4:5], s[4:5], 8
	s_mov_b32 s28, 0
	s_wait_alu 0xf1ff
	v_cndmask_b32_e64 v10, v0, v10, s3
	v_cmp_gt_i32_e64 s3, 32, v11
	s_cselect_b32 s5, s5, s23
	s_cselect_b32 s4, s4, s22
	s_cmp_lg_u32 s26, 0
	s_load_b64 s[22:23], s[4:5], 0x0
	v_cndmask_b32_e64 v11, v0, v11, s3
	v_cmp_gt_i32_e64 s3, 32, v12
	v_lshlrev_b32_e32 v21, 2, v10
	s_delay_alu instid0(VALU_DEP_3) | instskip(SKIP_1) | instid1(VALU_DEP_3)
	v_lshlrev_b32_e32 v22, 2, v11
	s_wait_alu 0xf1ff
	v_cndmask_b32_e64 v12, v0, v12, s3
	v_cmp_gt_i32_e64 s3, 32, v13
	s_wait_kmcnt 0x0
	s_sub_nc_u64 s[4:5], s[24:25], s[12:13]
	s_delay_alu instid0(SALU_CYCLE_1)
	s_mul_i32 s6, s14, s5
	v_lshlrev_b32_e32 v23, 2, v12
	v_cndmask_b32_e64 v13, v0, v13, s3
	v_lshlrev_b32_e32 v0, 2, v9
	v_mad_co_u64_u32 v[9:10], null, s14, s4, v[5:6]
	s_cselect_b32 s3, -1, 0
	s_and_b32 s29, vcc_lo, s2
	s_mul_i32 s2, s15, s4
	v_lshlrev_b32_e32 v24, 2, v13
	v_cmp_lt_i64_e64 s30, s[24:25], s[22:23]
	s_lshl_b64 s[20:21], s[20:21], 3
	s_wait_alu 0xfffe
	v_add3_u32 v11, s6, s2, v10
	v_mul_lo_u32 v13, s15, v9
	v_mad_co_u64_u32 v[9:10], null, s14, v9, 0
	s_sub_nc_u64 s[6:7], s[22:23], s[12:13]
	v_mul_lo_u32 v15, s14, v11
	v_add_co_u32 v11, s2, s16, v14
	s_wait_alu 0xf1ff
	v_add_co_ci_u32_e64 v12, null, s17, 0, s2
	s_add_nc_u64 s[16:17], s[18:19], s[20:21]
	v_add_co_u32 v11, vcc_lo, v11, 4
	s_delay_alu instid0(VALU_DEP_1)
	v_add_co_ci_u32_e64 v12, null, 0, v12, vcc_lo
	v_add3_u32 v10, v10, v15, v13
	s_lshl_b64 s[18:19], s[14:15], 3
	s_lshl_b64 s[20:21], s[14:15], 5
	s_mul_u64 s[22:23], s[14:15], s[14:15]
	s_branch .LBB80_8
.LBB80_7:                               ;   in Loop: Header=BB80_8 Depth=1
	s_wait_alu 0xfffe
	s_or_b32 exec_lo, exec_lo, s2
	v_add_co_u32 v5, vcc_lo, v5, 32
	s_wait_alu 0xfffd
	v_add_co_ci_u32_e64 v6, null, 0, v6, vcc_lo
	v_add_co_u32 v9, s2, v9, s20
	s_wait_alu 0xf1ff
	v_add_co_ci_u32_e64 v10, null, s21, v10, s2
	s_delay_alu instid0(VALU_DEP_3) | instskip(SKIP_1) | instid1(SALU_CYCLE_1)
	v_cmp_le_i64_e32 vcc_lo, s[14:15], v[5:6]
	s_or_b32 s28, vcc_lo, s28
	s_and_not1_b32 exec_lo, exec_lo, s28
	s_cbranch_execz .LBB80_24
.LBB80_8:                               ; =>This Loop Header: Depth=1
                                        ;     Child Loop BB80_12 Depth 2
                                        ;       Child Loop BB80_15 Depth 3
	v_dual_mov_b32 v25, 0 :: v_dual_mov_b32 v26, 0
	s_and_not1_b32 vcc_lo, exec_lo, s30
	s_wait_alu 0xfffe
	s_cbranch_vccnz .LBB80_19
; %bb.9:                                ;   in Loop: Header=BB80_8 Depth=1
	s_wait_dscnt 0x1
	v_dual_mov_b32 v25, 0 :: v_dual_mov_b32 v14, v10
	v_dual_mov_b32 v13, v9 :: v_dual_mov_b32 v26, 0
	s_mov_b64 s[24:25], s[4:5]
	s_branch .LBB80_12
.LBB80_10:                              ;   in Loop: Header=BB80_12 Depth=2
	s_or_b32 exec_lo, exec_lo, s33
.LBB80_11:                              ;   in Loop: Header=BB80_12 Depth=2
	s_delay_alu instid0(SALU_CYCLE_1)
	s_or_b32 exec_lo, exec_lo, s31
	s_wait_alu 0xfffe
	s_add_nc_u64 s[24:25], s[24:25], 1
	v_add_co_u32 v13, vcc_lo, v13, s22
	s_wait_alu 0xfffe
	v_cmp_ge_i64_e64 s2, s[24:25], s[6:7]
	s_wait_alu 0xfffd
	v_add_co_ci_u32_e64 v14, null, s23, v14, vcc_lo
	s_and_b32 vcc_lo, exec_lo, s2
	s_wait_alu 0xfffe
	s_cbranch_vccnz .LBB80_19
.LBB80_12:                              ;   Parent Loop BB80_8 Depth=1
                                        ; =>  This Loop Header: Depth=2
                                        ;       Child Loop BB80_15 Depth 3
	s_and_saveexec_b32 s31, s0
	s_cbranch_execz .LBB80_11
; %bb.13:                               ;   in Loop: Header=BB80_12 Depth=2
	s_wait_alu 0xfffe
	s_lshl_b64 s[26:27], s[24:25], 3
	v_dual_mov_b32 v18, v8 :: v_dual_mov_b32 v17, v7
	s_wait_alu 0xfffe
	s_add_nc_u64 s[26:27], s[8:9], s[26:27]
	s_mov_b32 s33, 0
	s_load_b64 s[26:27], s[26:27], 0x0
	s_wait_kmcnt 0x0
	s_sub_nc_u64 s[26:27], s[26:27], s[12:13]
	s_wait_dscnt 0x0
	s_wait_alu 0xfffe
	v_mad_co_u64_u32 v[15:16], null, s18, s26, v[11:12]
	s_mul_i32 s2, s19, s26
	s_mul_i32 s26, s18, s27
	s_wait_alu 0xfffe
	v_add3_u32 v16, s26, s2, v16
	s_mul_u64 s[26:27], s[24:25], s[14:15]
	s_branch .LBB80_15
.LBB80_14:                              ;   in Loop: Header=BB80_15 Depth=3
	s_delay_alu instid0(VALU_DEP_1) | instskip(NEXT) | instid1(VALU_DEP_1)
	v_lshlrev_b64_e32 v[19:20], 2, v[19:20]
	v_add_co_u32 v19, vcc_lo, s10, v19
	s_wait_alu 0xfffd
	s_delay_alu instid0(VALU_DEP_2)
	v_add_co_ci_u32_e64 v20, null, s11, v20, vcc_lo
	v_add_co_u32 v17, vcc_lo, v17, 32
	global_load_b64 v[27:28], v[15:16], off offset:-4
	global_load_b32 v19, v[19:20], off
	s_wait_alu 0xfffd
	v_add_co_ci_u32_e64 v18, null, 0, v18, vcc_lo
	v_add_co_u32 v15, s2, 0x100, v15
	s_wait_alu 0xf1ff
	v_add_co_ci_u32_e64 v16, null, 0, v16, s2
	s_delay_alu instid0(VALU_DEP_3) | instskip(SKIP_3) | instid1(VALU_DEP_1)
	v_cmp_le_i64_e32 vcc_lo, s[14:15], v[17:18]
	s_or_b32 s33, vcc_lo, s33
	s_wait_loadcnt 0x0
	v_fmac_f32_e32 v26, v19, v27
	v_dual_fmac_f32 v25, 0, v27 :: v_dual_fmac_f32 v26, 0x80000000, v28
	s_delay_alu instid0(VALU_DEP_1)
	v_fmac_f32_e32 v25, v19, v28
	s_and_not1_b32 exec_lo, exec_lo, s33
	s_cbranch_execz .LBB80_10
.LBB80_15:                              ;   Parent Loop BB80_8 Depth=1
                                        ;     Parent Loop BB80_12 Depth=2
                                        ; =>    This Inner Loop Header: Depth=3
	s_and_b32 vcc_lo, exec_lo, s3
	s_wait_alu 0xfffe
	s_cbranch_vccz .LBB80_17
; %bb.16:                               ;   in Loop: Header=BB80_15 Depth=3
	v_add_co_u32 v19, vcc_lo, v17, s26
	s_wait_alu 0xfffd
	v_add_co_ci_u32_e64 v20, null, s27, v18, vcc_lo
	s_delay_alu instid0(VALU_DEP_2) | instskip(NEXT) | instid1(VALU_DEP_2)
	v_mul_lo_u32 v27, v19, s15
	v_mul_lo_u32 v28, v20, s14
	v_mad_co_u64_u32 v[19:20], null, v19, s14, v[5:6]
	s_delay_alu instid0(VALU_DEP_1)
	v_add3_u32 v20, v28, v20, v27
	s_cbranch_execnz .LBB80_14
	s_branch .LBB80_18
.LBB80_17:                              ;   in Loop: Header=BB80_15 Depth=3
                                        ; implicit-def: $vgpr19_vgpr20
.LBB80_18:                              ;   in Loop: Header=BB80_15 Depth=3
	v_add_co_u32 v19, vcc_lo, v13, v17
	s_wait_alu 0xfffd
	v_add_co_ci_u32_e64 v20, null, v14, v18, vcc_lo
	s_branch .LBB80_14
.LBB80_19:                              ;   in Loop: Header=BB80_8 Depth=1
	ds_bpermute_b32 v13, v0, v26
	s_wait_dscnt 0x2
	ds_bpermute_b32 v14, v0, v25
	s_wait_dscnt 0x0
	v_dual_add_f32 v13, v26, v13 :: v_dual_add_f32 v14, v25, v14
	ds_bpermute_b32 v15, v21, v13
	ds_bpermute_b32 v16, v21, v14
	s_wait_dscnt 0x0
	v_dual_add_f32 v13, v13, v15 :: v_dual_add_f32 v14, v14, v16
	ds_bpermute_b32 v15, v22, v13
	;; [unrolled: 4-line block ×3, first 2 shown]
	ds_bpermute_b32 v16, v23, v14
	s_wait_dscnt 0x1
	v_add_f32_e32 v13, v13, v15
	s_wait_dscnt 0x0
	v_add_f32_e32 v15, v14, v16
	ds_bpermute_b32 v14, v24, v13
	ds_bpermute_b32 v16, v24, v15
	s_and_saveexec_b32 s2, s1
	s_cbranch_execz .LBB80_7
; %bb.20:                               ;   in Loop: Header=BB80_8 Depth=1
	s_wait_dscnt 0x1
	v_add_f32_e32 v17, v13, v14
	s_wait_dscnt 0x0
	v_add_f32_e32 v15, v15, v16
	s_delay_alu instid0(VALU_DEP_1) | instskip(NEXT) | instid1(VALU_DEP_1)
	v_mul_f32_e32 v14, v1, v15
	v_fmac_f32_e32 v14, v2, v17
	v_mul_f32_e64 v13, v15, -v2
	v_lshlrev_b64_e32 v[15:16], 3, v[5:6]
	s_delay_alu instid0(VALU_DEP_2)
	v_fmac_f32_e32 v13, v1, v17
	s_and_saveexec_b32 s24, s29
	s_wait_alu 0xfffe
	s_xor_b32 s24, exec_lo, s24
	s_cbranch_execz .LBB80_22
; %bb.21:                               ;   in Loop: Header=BB80_8 Depth=1
	v_add_co_u32 v15, vcc_lo, s16, v15
	s_wait_alu 0xfffd
	v_add_co_ci_u32_e64 v16, null, s17, v16, vcc_lo
	global_store_b64 v[15:16], v[13:14], off
                                        ; implicit-def: $vgpr15_vgpr16
                                        ; implicit-def: $vgpr13
.LBB80_22:                              ;   in Loop: Header=BB80_8 Depth=1
	s_wait_alu 0xfffe
	s_and_not1_saveexec_b32 s24, s24
	s_cbranch_execz .LBB80_7
; %bb.23:                               ;   in Loop: Header=BB80_8 Depth=1
	v_add_co_u32 v15, vcc_lo, s16, v15
	s_wait_alu 0xfffd
	v_add_co_ci_u32_e64 v16, null, s17, v16, vcc_lo
	global_load_b64 v[17:18], v[15:16], off
	s_wait_loadcnt 0x0
	v_fmac_f32_e32 v13, v3, v17
	v_fmac_f32_e32 v14, v4, v17
	s_delay_alu instid0(VALU_DEP_2) | instskip(NEXT) | instid1(VALU_DEP_2)
	v_fma_f32 v13, -v4, v18, v13
	v_fmac_f32_e32 v14, v3, v18
	global_store_b64 v[15:16], v[13:14], off
	s_branch .LBB80_7
.LBB80_24:
	s_endpgm
	.section	.rodata,"a",@progbits
	.p2align	6, 0x0
	.amdhsa_kernel _ZN9rocsparseL22bsrxmvn_general_kernelILj1024ELj32E21rocsparse_complex_numIfEllfS2_S2_EEv20rocsparse_direction_NS_24const_host_device_scalarIT1_EET3_PKS7_PKT2_SC_S9_PKT4_S7_PKT5_S6_PT6_21rocsparse_index_base_b
		.amdhsa_group_segment_fixed_size 0
		.amdhsa_private_segment_fixed_size 0
		.amdhsa_kernarg_size 104
		.amdhsa_user_sgpr_count 2
		.amdhsa_user_sgpr_dispatch_ptr 0
		.amdhsa_user_sgpr_queue_ptr 0
		.amdhsa_user_sgpr_kernarg_segment_ptr 1
		.amdhsa_user_sgpr_dispatch_id 0
		.amdhsa_user_sgpr_private_segment_size 0
		.amdhsa_wavefront_size32 1
		.amdhsa_uses_dynamic_stack 0
		.amdhsa_enable_private_segment 0
		.amdhsa_system_sgpr_workgroup_id_x 1
		.amdhsa_system_sgpr_workgroup_id_y 0
		.amdhsa_system_sgpr_workgroup_id_z 0
		.amdhsa_system_sgpr_workgroup_info 0
		.amdhsa_system_vgpr_workitem_id 0
		.amdhsa_next_free_vgpr 29
		.amdhsa_next_free_sgpr 34
		.amdhsa_reserve_vcc 1
		.amdhsa_float_round_mode_32 0
		.amdhsa_float_round_mode_16_64 0
		.amdhsa_float_denorm_mode_32 3
		.amdhsa_float_denorm_mode_16_64 3
		.amdhsa_fp16_overflow 0
		.amdhsa_workgroup_processor_mode 1
		.amdhsa_memory_ordered 1
		.amdhsa_forward_progress 1
		.amdhsa_inst_pref_size 13
		.amdhsa_round_robin_scheduling 0
		.amdhsa_exception_fp_ieee_invalid_op 0
		.amdhsa_exception_fp_denorm_src 0
		.amdhsa_exception_fp_ieee_div_zero 0
		.amdhsa_exception_fp_ieee_overflow 0
		.amdhsa_exception_fp_ieee_underflow 0
		.amdhsa_exception_fp_ieee_inexact 0
		.amdhsa_exception_int_div_zero 0
	.end_amdhsa_kernel
	.section	.text._ZN9rocsparseL22bsrxmvn_general_kernelILj1024ELj32E21rocsparse_complex_numIfEllfS2_S2_EEv20rocsparse_direction_NS_24const_host_device_scalarIT1_EET3_PKS7_PKT2_SC_S9_PKT4_S7_PKT5_S6_PT6_21rocsparse_index_base_b,"axG",@progbits,_ZN9rocsparseL22bsrxmvn_general_kernelILj1024ELj32E21rocsparse_complex_numIfEllfS2_S2_EEv20rocsparse_direction_NS_24const_host_device_scalarIT1_EET3_PKS7_PKT2_SC_S9_PKT4_S7_PKT5_S6_PT6_21rocsparse_index_base_b,comdat
.Lfunc_end80:
	.size	_ZN9rocsparseL22bsrxmvn_general_kernelILj1024ELj32E21rocsparse_complex_numIfEllfS2_S2_EEv20rocsparse_direction_NS_24const_host_device_scalarIT1_EET3_PKS7_PKT2_SC_S9_PKT4_S7_PKT5_S6_PT6_21rocsparse_index_base_b, .Lfunc_end80-_ZN9rocsparseL22bsrxmvn_general_kernelILj1024ELj32E21rocsparse_complex_numIfEllfS2_S2_EEv20rocsparse_direction_NS_24const_host_device_scalarIT1_EET3_PKS7_PKT2_SC_S9_PKT4_S7_PKT5_S6_PT6_21rocsparse_index_base_b
                                        ; -- End function
	.set _ZN9rocsparseL22bsrxmvn_general_kernelILj1024ELj32E21rocsparse_complex_numIfEllfS2_S2_EEv20rocsparse_direction_NS_24const_host_device_scalarIT1_EET3_PKS7_PKT2_SC_S9_PKT4_S7_PKT5_S6_PT6_21rocsparse_index_base_b.num_vgpr, 29
	.set _ZN9rocsparseL22bsrxmvn_general_kernelILj1024ELj32E21rocsparse_complex_numIfEllfS2_S2_EEv20rocsparse_direction_NS_24const_host_device_scalarIT1_EET3_PKS7_PKT2_SC_S9_PKT4_S7_PKT5_S6_PT6_21rocsparse_index_base_b.num_agpr, 0
	.set _ZN9rocsparseL22bsrxmvn_general_kernelILj1024ELj32E21rocsparse_complex_numIfEllfS2_S2_EEv20rocsparse_direction_NS_24const_host_device_scalarIT1_EET3_PKS7_PKT2_SC_S9_PKT4_S7_PKT5_S6_PT6_21rocsparse_index_base_b.numbered_sgpr, 34
	.set _ZN9rocsparseL22bsrxmvn_general_kernelILj1024ELj32E21rocsparse_complex_numIfEllfS2_S2_EEv20rocsparse_direction_NS_24const_host_device_scalarIT1_EET3_PKS7_PKT2_SC_S9_PKT4_S7_PKT5_S6_PT6_21rocsparse_index_base_b.num_named_barrier, 0
	.set _ZN9rocsparseL22bsrxmvn_general_kernelILj1024ELj32E21rocsparse_complex_numIfEllfS2_S2_EEv20rocsparse_direction_NS_24const_host_device_scalarIT1_EET3_PKS7_PKT2_SC_S9_PKT4_S7_PKT5_S6_PT6_21rocsparse_index_base_b.private_seg_size, 0
	.set _ZN9rocsparseL22bsrxmvn_general_kernelILj1024ELj32E21rocsparse_complex_numIfEllfS2_S2_EEv20rocsparse_direction_NS_24const_host_device_scalarIT1_EET3_PKS7_PKT2_SC_S9_PKT4_S7_PKT5_S6_PT6_21rocsparse_index_base_b.uses_vcc, 1
	.set _ZN9rocsparseL22bsrxmvn_general_kernelILj1024ELj32E21rocsparse_complex_numIfEllfS2_S2_EEv20rocsparse_direction_NS_24const_host_device_scalarIT1_EET3_PKS7_PKT2_SC_S9_PKT4_S7_PKT5_S6_PT6_21rocsparse_index_base_b.uses_flat_scratch, 0
	.set _ZN9rocsparseL22bsrxmvn_general_kernelILj1024ELj32E21rocsparse_complex_numIfEllfS2_S2_EEv20rocsparse_direction_NS_24const_host_device_scalarIT1_EET3_PKS7_PKT2_SC_S9_PKT4_S7_PKT5_S6_PT6_21rocsparse_index_base_b.has_dyn_sized_stack, 0
	.set _ZN9rocsparseL22bsrxmvn_general_kernelILj1024ELj32E21rocsparse_complex_numIfEllfS2_S2_EEv20rocsparse_direction_NS_24const_host_device_scalarIT1_EET3_PKS7_PKT2_SC_S9_PKT4_S7_PKT5_S6_PT6_21rocsparse_index_base_b.has_recursion, 0
	.set _ZN9rocsparseL22bsrxmvn_general_kernelILj1024ELj32E21rocsparse_complex_numIfEllfS2_S2_EEv20rocsparse_direction_NS_24const_host_device_scalarIT1_EET3_PKS7_PKT2_SC_S9_PKT4_S7_PKT5_S6_PT6_21rocsparse_index_base_b.has_indirect_call, 0
	.section	.AMDGPU.csdata,"",@progbits
; Kernel info:
; codeLenInByte = 1588
; TotalNumSgprs: 36
; NumVgprs: 29
; ScratchSize: 0
; MemoryBound: 0
; FloatMode: 240
; IeeeMode: 1
; LDSByteSize: 0 bytes/workgroup (compile time only)
; SGPRBlocks: 0
; VGPRBlocks: 3
; NumSGPRsForWavesPerEU: 36
; NumVGPRsForWavesPerEU: 29
; Occupancy: 16
; WaveLimiterHint : 0
; COMPUTE_PGM_RSRC2:SCRATCH_EN: 0
; COMPUTE_PGM_RSRC2:USER_SGPR: 2
; COMPUTE_PGM_RSRC2:TRAP_HANDLER: 0
; COMPUTE_PGM_RSRC2:TGID_X_EN: 1
; COMPUTE_PGM_RSRC2:TGID_Y_EN: 0
; COMPUTE_PGM_RSRC2:TGID_Z_EN: 0
; COMPUTE_PGM_RSRC2:TIDIG_COMP_CNT: 0
	.section	.text._ZN9rocsparseL22bsrxmvn_general_kernelILj64ELj8EdiifddEEv20rocsparse_direction_NS_24const_host_device_scalarIT1_EET3_PKS5_PKT2_SA_S7_PKT4_S5_PKT5_S4_PT6_21rocsparse_index_base_b,"axG",@progbits,_ZN9rocsparseL22bsrxmvn_general_kernelILj64ELj8EdiifddEEv20rocsparse_direction_NS_24const_host_device_scalarIT1_EET3_PKS5_PKT2_SA_S7_PKT4_S5_PKT5_S4_PT6_21rocsparse_index_base_b,comdat
	.globl	_ZN9rocsparseL22bsrxmvn_general_kernelILj64ELj8EdiifddEEv20rocsparse_direction_NS_24const_host_device_scalarIT1_EET3_PKS5_PKT2_SA_S7_PKT4_S5_PKT5_S4_PT6_21rocsparse_index_base_b ; -- Begin function _ZN9rocsparseL22bsrxmvn_general_kernelILj64ELj8EdiifddEEv20rocsparse_direction_NS_24const_host_device_scalarIT1_EET3_PKS5_PKT2_SA_S7_PKT4_S5_PKT5_S4_PT6_21rocsparse_index_base_b
	.p2align	8
	.type	_ZN9rocsparseL22bsrxmvn_general_kernelILj64ELj8EdiifddEEv20rocsparse_direction_NS_24const_host_device_scalarIT1_EET3_PKS5_PKT2_SA_S7_PKT4_S5_PKT5_S4_PT6_21rocsparse_index_base_b,@function
_ZN9rocsparseL22bsrxmvn_general_kernelILj64ELj8EdiifddEEv20rocsparse_direction_NS_24const_host_device_scalarIT1_EET3_PKS5_PKT2_SA_S7_PKT4_S5_PKT5_S4_PT6_21rocsparse_index_base_b: ; @_ZN9rocsparseL22bsrxmvn_general_kernelILj64ELj8EdiifddEEv20rocsparse_direction_NS_24const_host_device_scalarIT1_EET3_PKS5_PKT2_SA_S7_PKT4_S5_PKT5_S4_PT6_21rocsparse_index_base_b
; %bb.0:
	s_clause 0x2
	s_load_b64 s[12:13], s[0:1], 0x60
	s_load_b64 s[4:5], s[0:1], 0x8
	;; [unrolled: 1-line block ×3, first 2 shown]
	s_wait_kmcnt 0x0
	s_bitcmp1_b32 s13, 0
	v_dual_mov_b32 v1, s4 :: v_dual_mov_b32 v2, s5
	s_cselect_b32 s6, -1, 0
	s_delay_alu instid0(SALU_CYCLE_1)
	s_and_b32 vcc_lo, exec_lo, s6
	s_xor_b32 s6, s6, -1
	s_cbranch_vccnz .LBB81_2
; %bb.1:
	v_dual_mov_b32 v1, s4 :: v_dual_mov_b32 v2, s5
	flat_load_b64 v[1:2], v[1:2]
.LBB81_2:
	v_dual_mov_b32 v4, s3 :: v_dual_mov_b32 v3, s2
	s_and_not1_b32 vcc_lo, exec_lo, s6
	s_cbranch_vccnz .LBB81_4
; %bb.3:
	v_dual_mov_b32 v4, s3 :: v_dual_mov_b32 v3, s2
	flat_load_b64 v[3:4], v[3:4]
.LBB81_4:
	s_wait_loadcnt_dscnt 0x0
	v_cmp_neq_f64_e32 vcc_lo, 0, v[1:2]
	v_cmp_neq_f64_e64 s2, 1.0, v[3:4]
	s_or_b32 s2, vcc_lo, s2
	s_wait_alu 0xfffe
	s_and_saveexec_b32 s3, s2
	s_cbranch_execz .LBB81_27
; %bb.5:
	s_load_b64 s[2:3], s[0:1], 0x18
	s_wait_kmcnt 0x0
	s_cmp_eq_u64 s[2:3], 0
	s_cbranch_scc1 .LBB81_7
; %bb.6:
	s_mov_b32 s4, ttmp9
	s_ashr_i32 s5, ttmp9, 31
	s_wait_alu 0xfffe
	s_lshl_b64 s[4:5], s[4:5], 2
	s_wait_alu 0xfffe
	s_add_nc_u64 s[2:3], s[2:3], s[4:5]
	s_load_b32 s2, s[2:3], 0x0
	s_wait_kmcnt 0x0
	s_sub_co_i32 s20, s2, s12
	s_branch .LBB81_8
.LBB81_7:
	s_mov_b32 s20, ttmp9
.LBB81_8:
	s_load_b32 s14, s[0:1], 0x40
	v_lshrrev_b32_e32 v5, 3, v0
	s_wait_kmcnt 0x0
	s_delay_alu instid0(VALU_DEP_1)
	v_cmp_gt_i32_e32 vcc_lo, s14, v5
	s_and_b32 exec_lo, exec_lo, vcc_lo
	s_cbranch_execz .LBB81_27
; %bb.9:
	s_load_b256 s[4:11], s[0:1], 0x20
	s_ashr_i32 s21, s20, 31
	v_cmp_eq_f64_e64 s2, 0, v[3:4]
	s_lshl_b64 s[18:19], s[20:21], 2
	v_mbcnt_lo_u32_b32 v9, -1, 0
	v_dual_mov_b32 v6, 0 :: v_dual_and_b32 v7, 7, v0
	v_mul_lo_u32 v0, s14, v5
	s_mov_b32 s15, 0
	s_delay_alu instid0(VALU_DEP_3) | instskip(SKIP_3) | instid1(VALU_DEP_4)
	v_xor_b32_e32 v10, 4, v9
	v_xor_b32_e32 v11, 2, v9
	;; [unrolled: 1-line block ×3, first 2 shown]
	v_mul_lo_u32 v17, s14, v7
	v_cmp_gt_i32_e32 vcc_lo, 32, v10
	v_cndmask_b32_e32 v10, v9, v10, vcc_lo
	s_wait_kmcnt 0x0
	s_add_nc_u64 s[22:23], s[4:5], s[18:19]
	s_add_nc_u64 s[24:25], s[6:7], s[18:19]
	s_load_b32 s13, s[22:23], 0x0
	s_clause 0x1
	s_load_b64 s[4:5], s[0:1], 0x58
	s_load_b64 s[16:17], s[0:1], 0x48
	s_add_nc_u64 s[22:23], s[22:23], 4
	s_load_b32 s19, s[0:1], 0x0
	v_cmp_gt_i32_e32 vcc_lo, 32, v11
	s_wait_alu 0xfffd
	v_dual_mov_b32 v8, v6 :: v_dual_cndmask_b32 v11, v9, v11
	v_cmp_gt_i32_e32 vcc_lo, 32, v12
	s_delay_alu instid0(VALU_DEP_2)
	v_lshlrev_b32_e32 v19, 2, v11
	s_wait_alu 0xfffd
	v_dual_cndmask_b32 v9, v9, v12 :: v_dual_lshlrev_b32 v18, 2, v10
	s_wait_kmcnt 0x0
	s_sub_co_i32 s18, s13, s12
	s_cmp_eq_u64 s[6:7], 0
	s_delay_alu instid0(VALU_DEP_1)
	v_lshlrev_b32_e32 v20, 2, v9
	s_cselect_b32 s1, s23, s25
	s_cselect_b32 s0, s22, s24
	s_mul_u64 s[6:7], s[14:15], s[14:15]
	s_load_b32 s21, s[0:1], 0x0
	v_cmp_gt_u32_e64 s0, s14, v7
	v_cmp_eq_u32_e64 s1, 7, v7
	s_mul_i32 s25, s20, s14
	s_wait_kmcnt 0x0
	s_sub_co_i32 s3, s21, s12
	s_cmp_lt_i32 s13, s21
	s_cselect_b32 s13, -1, 0
	s_cmp_lg_u32 s19, 0
	s_cselect_b32 s24, -1, 0
	s_ashr_i32 s19, s18, 31
	s_delay_alu instid0(SALU_CYCLE_1)
	s_mul_u64 s[20:21], s[18:19], s[6:7]
	s_lshl_b32 s19, s14, 3
	s_branch .LBB81_11
.LBB81_10:                              ;   in Loop: Header=BB81_11 Depth=1
	s_wait_alu 0xfffe
	s_or_b32 exec_lo, exec_lo, s22
	v_add_nc_u32_e32 v5, 8, v5
	v_add_nc_u32_e32 v0, s19, v0
	s_delay_alu instid0(VALU_DEP_2)
	v_cmp_le_i32_e32 vcc_lo, s14, v5
	s_or_b32 s15, vcc_lo, s15
	s_wait_alu 0xfffe
	s_and_not1_b32 exec_lo, exec_lo, s15
	s_cbranch_execz .LBB81_27
.LBB81_11:                              ; =>This Loop Header: Depth=1
                                        ;     Child Loop BB81_15 Depth 2
                                        ;       Child Loop BB81_18 Depth 3
	v_mov_b32_e32 v9, 0
	v_mov_b32_e32 v10, 0
	s_and_not1_b32 vcc_lo, exec_lo, s13
	s_wait_alu 0xfffe
	s_cbranch_vccnz .LBB81_22
; %bb.12:                               ;   in Loop: Header=BB81_11 Depth=1
	s_wait_dscnt 0x1
	v_ashrrev_i32_e32 v11, 31, v0
	v_add_co_u32 v21, vcc_lo, s20, v0
	v_mov_b32_e32 v9, 0
	v_mov_b32_e32 v10, 0
	s_wait_alu 0xfffd
	v_add_co_ci_u32_e64 v22, null, s21, v11, vcc_lo
	s_mov_b32 s22, s18
	s_branch .LBB81_15
.LBB81_13:                              ;   in Loop: Header=BB81_15 Depth=2
	s_or_b32 exec_lo, exec_lo, s23
.LBB81_14:                              ;   in Loop: Header=BB81_15 Depth=2
	s_wait_alu 0xfffe
	s_or_b32 exec_lo, exec_lo, s26
	v_add_co_u32 v21, vcc_lo, v21, s6
	s_wait_alu 0xfffd
	v_add_co_ci_u32_e64 v22, null, s7, v22, vcc_lo
	s_add_co_i32 s22, s22, 1
	s_wait_alu 0xfffe
	s_cmp_ge_i32 s22, s3
	s_cbranch_scc1 .LBB81_22
.LBB81_15:                              ;   Parent Loop BB81_11 Depth=1
                                        ; =>  This Loop Header: Depth=2
                                        ;       Child Loop BB81_18 Depth 3
	s_and_saveexec_b32 s26, s0
	s_cbranch_execz .LBB81_14
; %bb.16:                               ;   in Loop: Header=BB81_15 Depth=2
	s_wait_alu 0xfffe
	s_ashr_i32 s23, s22, 31
	s_wait_dscnt 0x0
	v_mad_co_u64_u32 v[11:12], null, s6, s22, v[5:6]
	s_wait_alu 0xfffe
	s_lshl_b64 s[28:29], s[22:23], 2
	s_mul_i32 s23, s6, s23
	s_wait_alu 0xfffe
	s_add_nc_u64 s[28:29], s[8:9], s[28:29]
	v_dual_mov_b32 v23, v17 :: v_dual_mov_b32 v14, v8
	s_load_b32 s27, s[28:29], 0x0
	s_mul_i32 s28, s7, s22
	v_mov_b32_e32 v13, v7
	s_wait_alu 0xfffe
	v_add3_u32 v12, s23, s28, v12
	s_wait_kmcnt 0x0
	s_sub_co_i32 s23, s27, s12
	s_wait_alu 0xfffe
	s_mul_i32 s27, s23, s14
	s_mov_b32 s23, 0
	s_branch .LBB81_18
.LBB81_17:                              ;   in Loop: Header=BB81_18 Depth=3
	s_delay_alu instid0(VALU_DEP_1) | instskip(SKIP_1) | instid1(VALU_DEP_2)
	v_lshlrev_b64_e32 v[15:16], 2, v[15:16]
	v_add_nc_u32_e32 v23, s19, v23
	v_add_co_u32 v15, vcc_lo, s10, v15
	s_wait_alu 0xfffd
	s_delay_alu instid0(VALU_DEP_3) | instskip(SKIP_2) | instid1(VALU_DEP_1)
	v_add_co_ci_u32_e64 v16, null, s11, v16, vcc_lo
	global_load_b32 v24, v[15:16], off
	v_add_nc_u32_e32 v15, s27, v13
	v_ashrrev_i32_e32 v16, 31, v15
	s_delay_alu instid0(VALU_DEP_1) | instskip(NEXT) | instid1(VALU_DEP_1)
	v_lshlrev_b64_e32 v[15:16], 3, v[15:16]
	v_add_co_u32 v15, vcc_lo, s16, v15
	s_wait_alu 0xfffd
	s_delay_alu instid0(VALU_DEP_2)
	v_add_co_ci_u32_e64 v16, null, s17, v16, vcc_lo
	v_add_co_u32 v13, vcc_lo, v13, 8
	s_wait_alu 0xfffd
	v_add_co_ci_u32_e64 v14, null, 0, v14, vcc_lo
	global_load_b64 v[15:16], v[15:16], off
	v_cmp_le_i32_e32 vcc_lo, s14, v13
	s_or_b32 s23, vcc_lo, s23
	s_wait_loadcnt 0x1
	v_cvt_f64_f32_e32 v[24:25], v24
	s_wait_loadcnt 0x0
	s_delay_alu instid0(VALU_DEP_1)
	v_fma_f64 v[9:10], v[24:25], v[15:16], v[9:10]
	s_wait_alu 0xfffe
	s_and_not1_b32 exec_lo, exec_lo, s23
	s_cbranch_execz .LBB81_13
.LBB81_18:                              ;   Parent Loop BB81_11 Depth=1
                                        ;     Parent Loop BB81_15 Depth=2
                                        ; =>    This Inner Loop Header: Depth=3
	s_and_b32 vcc_lo, exec_lo, s24
	s_wait_alu 0xfffe
	s_cbranch_vccz .LBB81_20
; %bb.19:                               ;   in Loop: Header=BB81_18 Depth=3
	v_ashrrev_i32_e32 v16, 31, v23
	v_add_co_u32 v15, vcc_lo, v11, v23
	s_wait_alu 0xfffd
	s_delay_alu instid0(VALU_DEP_2)
	v_add_co_ci_u32_e64 v16, null, v12, v16, vcc_lo
	s_cbranch_execnz .LBB81_17
	s_branch .LBB81_21
.LBB81_20:                              ;   in Loop: Header=BB81_18 Depth=3
                                        ; implicit-def: $vgpr15_vgpr16
.LBB81_21:                              ;   in Loop: Header=BB81_18 Depth=3
	v_add_co_u32 v15, vcc_lo, v21, v13
	s_wait_alu 0xfffd
	v_add_co_ci_u32_e64 v16, null, v22, v14, vcc_lo
	s_branch .LBB81_17
.LBB81_22:                              ;   in Loop: Header=BB81_11 Depth=1
	s_wait_dscnt 0x1
	ds_bpermute_b32 v11, v18, v9
	s_wait_dscnt 0x1
	ds_bpermute_b32 v12, v18, v10
	s_wait_dscnt 0x0
	v_add_f64_e32 v[9:10], v[9:10], v[11:12]
	ds_bpermute_b32 v11, v19, v9
	ds_bpermute_b32 v12, v19, v10
	s_wait_dscnt 0x0
	v_add_f64_e32 v[9:10], v[9:10], v[11:12]
	ds_bpermute_b32 v11, v20, v9
	ds_bpermute_b32 v12, v20, v10
	s_and_saveexec_b32 s22, s1
	s_cbranch_execz .LBB81_10
; %bb.23:                               ;   in Loop: Header=BB81_11 Depth=1
	s_wait_dscnt 0x0
	v_add_f64_e32 v[9:10], v[9:10], v[11:12]
	v_add_nc_u32_e32 v11, s25, v5
	s_delay_alu instid0(VALU_DEP_1) | instskip(NEXT) | instid1(VALU_DEP_3)
	v_ashrrev_i32_e32 v12, 31, v11
	v_mul_f64_e32 v[9:10], v[1:2], v[9:10]
	s_and_saveexec_b32 s23, s2
	s_wait_alu 0xfffe
	s_xor_b32 s23, exec_lo, s23
	s_cbranch_execz .LBB81_25
; %bb.24:                               ;   in Loop: Header=BB81_11 Depth=1
	v_lshlrev_b64_e32 v[11:12], 3, v[11:12]
	s_delay_alu instid0(VALU_DEP_1) | instskip(SKIP_1) | instid1(VALU_DEP_2)
	v_add_co_u32 v11, vcc_lo, s4, v11
	s_wait_alu 0xfffd
	v_add_co_ci_u32_e64 v12, null, s5, v12, vcc_lo
	global_store_b64 v[11:12], v[9:10], off
                                        ; implicit-def: $vgpr11
                                        ; implicit-def: $vgpr9_vgpr10
.LBB81_25:                              ;   in Loop: Header=BB81_11 Depth=1
	s_wait_alu 0xfffe
	s_and_not1_saveexec_b32 s23, s23
	s_cbranch_execz .LBB81_10
; %bb.26:                               ;   in Loop: Header=BB81_11 Depth=1
	v_lshlrev_b64_e32 v[11:12], 3, v[11:12]
	s_delay_alu instid0(VALU_DEP_1) | instskip(SKIP_1) | instid1(VALU_DEP_2)
	v_add_co_u32 v11, vcc_lo, s4, v11
	s_wait_alu 0xfffd
	v_add_co_ci_u32_e64 v12, null, s5, v12, vcc_lo
	global_load_b64 v[13:14], v[11:12], off
	s_wait_loadcnt 0x0
	v_fma_f64 v[9:10], v[3:4], v[13:14], v[9:10]
	global_store_b64 v[11:12], v[9:10], off
	s_branch .LBB81_10
.LBB81_27:
	s_endpgm
	.section	.rodata,"a",@progbits
	.p2align	6, 0x0
	.amdhsa_kernel _ZN9rocsparseL22bsrxmvn_general_kernelILj64ELj8EdiifddEEv20rocsparse_direction_NS_24const_host_device_scalarIT1_EET3_PKS5_PKT2_SA_S7_PKT4_S5_PKT5_S4_PT6_21rocsparse_index_base_b
		.amdhsa_group_segment_fixed_size 0
		.amdhsa_private_segment_fixed_size 0
		.amdhsa_kernarg_size 104
		.amdhsa_user_sgpr_count 2
		.amdhsa_user_sgpr_dispatch_ptr 0
		.amdhsa_user_sgpr_queue_ptr 0
		.amdhsa_user_sgpr_kernarg_segment_ptr 1
		.amdhsa_user_sgpr_dispatch_id 0
		.amdhsa_user_sgpr_private_segment_size 0
		.amdhsa_wavefront_size32 1
		.amdhsa_uses_dynamic_stack 0
		.amdhsa_enable_private_segment 0
		.amdhsa_system_sgpr_workgroup_id_x 1
		.amdhsa_system_sgpr_workgroup_id_y 0
		.amdhsa_system_sgpr_workgroup_id_z 0
		.amdhsa_system_sgpr_workgroup_info 0
		.amdhsa_system_vgpr_workitem_id 0
		.amdhsa_next_free_vgpr 26
		.amdhsa_next_free_sgpr 30
		.amdhsa_reserve_vcc 1
		.amdhsa_float_round_mode_32 0
		.amdhsa_float_round_mode_16_64 0
		.amdhsa_float_denorm_mode_32 3
		.amdhsa_float_denorm_mode_16_64 3
		.amdhsa_fp16_overflow 0
		.amdhsa_workgroup_processor_mode 1
		.amdhsa_memory_ordered 1
		.amdhsa_forward_progress 1
		.amdhsa_inst_pref_size 10
		.amdhsa_round_robin_scheduling 0
		.amdhsa_exception_fp_ieee_invalid_op 0
		.amdhsa_exception_fp_denorm_src 0
		.amdhsa_exception_fp_ieee_div_zero 0
		.amdhsa_exception_fp_ieee_overflow 0
		.amdhsa_exception_fp_ieee_underflow 0
		.amdhsa_exception_fp_ieee_inexact 0
		.amdhsa_exception_int_div_zero 0
	.end_amdhsa_kernel
	.section	.text._ZN9rocsparseL22bsrxmvn_general_kernelILj64ELj8EdiifddEEv20rocsparse_direction_NS_24const_host_device_scalarIT1_EET3_PKS5_PKT2_SA_S7_PKT4_S5_PKT5_S4_PT6_21rocsparse_index_base_b,"axG",@progbits,_ZN9rocsparseL22bsrxmvn_general_kernelILj64ELj8EdiifddEEv20rocsparse_direction_NS_24const_host_device_scalarIT1_EET3_PKS5_PKT2_SA_S7_PKT4_S5_PKT5_S4_PT6_21rocsparse_index_base_b,comdat
.Lfunc_end81:
	.size	_ZN9rocsparseL22bsrxmvn_general_kernelILj64ELj8EdiifddEEv20rocsparse_direction_NS_24const_host_device_scalarIT1_EET3_PKS5_PKT2_SA_S7_PKT4_S5_PKT5_S4_PT6_21rocsparse_index_base_b, .Lfunc_end81-_ZN9rocsparseL22bsrxmvn_general_kernelILj64ELj8EdiifddEEv20rocsparse_direction_NS_24const_host_device_scalarIT1_EET3_PKS5_PKT2_SA_S7_PKT4_S5_PKT5_S4_PT6_21rocsparse_index_base_b
                                        ; -- End function
	.set _ZN9rocsparseL22bsrxmvn_general_kernelILj64ELj8EdiifddEEv20rocsparse_direction_NS_24const_host_device_scalarIT1_EET3_PKS5_PKT2_SA_S7_PKT4_S5_PKT5_S4_PT6_21rocsparse_index_base_b.num_vgpr, 26
	.set _ZN9rocsparseL22bsrxmvn_general_kernelILj64ELj8EdiifddEEv20rocsparse_direction_NS_24const_host_device_scalarIT1_EET3_PKS5_PKT2_SA_S7_PKT4_S5_PKT5_S4_PT6_21rocsparse_index_base_b.num_agpr, 0
	.set _ZN9rocsparseL22bsrxmvn_general_kernelILj64ELj8EdiifddEEv20rocsparse_direction_NS_24const_host_device_scalarIT1_EET3_PKS5_PKT2_SA_S7_PKT4_S5_PKT5_S4_PT6_21rocsparse_index_base_b.numbered_sgpr, 30
	.set _ZN9rocsparseL22bsrxmvn_general_kernelILj64ELj8EdiifddEEv20rocsparse_direction_NS_24const_host_device_scalarIT1_EET3_PKS5_PKT2_SA_S7_PKT4_S5_PKT5_S4_PT6_21rocsparse_index_base_b.num_named_barrier, 0
	.set _ZN9rocsparseL22bsrxmvn_general_kernelILj64ELj8EdiifddEEv20rocsparse_direction_NS_24const_host_device_scalarIT1_EET3_PKS5_PKT2_SA_S7_PKT4_S5_PKT5_S4_PT6_21rocsparse_index_base_b.private_seg_size, 0
	.set _ZN9rocsparseL22bsrxmvn_general_kernelILj64ELj8EdiifddEEv20rocsparse_direction_NS_24const_host_device_scalarIT1_EET3_PKS5_PKT2_SA_S7_PKT4_S5_PKT5_S4_PT6_21rocsparse_index_base_b.uses_vcc, 1
	.set _ZN9rocsparseL22bsrxmvn_general_kernelILj64ELj8EdiifddEEv20rocsparse_direction_NS_24const_host_device_scalarIT1_EET3_PKS5_PKT2_SA_S7_PKT4_S5_PKT5_S4_PT6_21rocsparse_index_base_b.uses_flat_scratch, 0
	.set _ZN9rocsparseL22bsrxmvn_general_kernelILj64ELj8EdiifddEEv20rocsparse_direction_NS_24const_host_device_scalarIT1_EET3_PKS5_PKT2_SA_S7_PKT4_S5_PKT5_S4_PT6_21rocsparse_index_base_b.has_dyn_sized_stack, 0
	.set _ZN9rocsparseL22bsrxmvn_general_kernelILj64ELj8EdiifddEEv20rocsparse_direction_NS_24const_host_device_scalarIT1_EET3_PKS5_PKT2_SA_S7_PKT4_S5_PKT5_S4_PT6_21rocsparse_index_base_b.has_recursion, 0
	.set _ZN9rocsparseL22bsrxmvn_general_kernelILj64ELj8EdiifddEEv20rocsparse_direction_NS_24const_host_device_scalarIT1_EET3_PKS5_PKT2_SA_S7_PKT4_S5_PKT5_S4_PT6_21rocsparse_index_base_b.has_indirect_call, 0
	.section	.AMDGPU.csdata,"",@progbits
; Kernel info:
; codeLenInByte = 1272
; TotalNumSgprs: 32
; NumVgprs: 26
; ScratchSize: 0
; MemoryBound: 0
; FloatMode: 240
; IeeeMode: 1
; LDSByteSize: 0 bytes/workgroup (compile time only)
; SGPRBlocks: 0
; VGPRBlocks: 3
; NumSGPRsForWavesPerEU: 32
; NumVGPRsForWavesPerEU: 26
; Occupancy: 16
; WaveLimiterHint : 1
; COMPUTE_PGM_RSRC2:SCRATCH_EN: 0
; COMPUTE_PGM_RSRC2:USER_SGPR: 2
; COMPUTE_PGM_RSRC2:TRAP_HANDLER: 0
; COMPUTE_PGM_RSRC2:TGID_X_EN: 1
; COMPUTE_PGM_RSRC2:TGID_Y_EN: 0
; COMPUTE_PGM_RSRC2:TGID_Z_EN: 0
; COMPUTE_PGM_RSRC2:TIDIG_COMP_CNT: 0
	.section	.text._ZN9rocsparseL22bsrxmvn_general_kernelILj256ELj16EdiifddEEv20rocsparse_direction_NS_24const_host_device_scalarIT1_EET3_PKS5_PKT2_SA_S7_PKT4_S5_PKT5_S4_PT6_21rocsparse_index_base_b,"axG",@progbits,_ZN9rocsparseL22bsrxmvn_general_kernelILj256ELj16EdiifddEEv20rocsparse_direction_NS_24const_host_device_scalarIT1_EET3_PKS5_PKT2_SA_S7_PKT4_S5_PKT5_S4_PT6_21rocsparse_index_base_b,comdat
	.globl	_ZN9rocsparseL22bsrxmvn_general_kernelILj256ELj16EdiifddEEv20rocsparse_direction_NS_24const_host_device_scalarIT1_EET3_PKS5_PKT2_SA_S7_PKT4_S5_PKT5_S4_PT6_21rocsparse_index_base_b ; -- Begin function _ZN9rocsparseL22bsrxmvn_general_kernelILj256ELj16EdiifddEEv20rocsparse_direction_NS_24const_host_device_scalarIT1_EET3_PKS5_PKT2_SA_S7_PKT4_S5_PKT5_S4_PT6_21rocsparse_index_base_b
	.p2align	8
	.type	_ZN9rocsparseL22bsrxmvn_general_kernelILj256ELj16EdiifddEEv20rocsparse_direction_NS_24const_host_device_scalarIT1_EET3_PKS5_PKT2_SA_S7_PKT4_S5_PKT5_S4_PT6_21rocsparse_index_base_b,@function
_ZN9rocsparseL22bsrxmvn_general_kernelILj256ELj16EdiifddEEv20rocsparse_direction_NS_24const_host_device_scalarIT1_EET3_PKS5_PKT2_SA_S7_PKT4_S5_PKT5_S4_PT6_21rocsparse_index_base_b: ; @_ZN9rocsparseL22bsrxmvn_general_kernelILj256ELj16EdiifddEEv20rocsparse_direction_NS_24const_host_device_scalarIT1_EET3_PKS5_PKT2_SA_S7_PKT4_S5_PKT5_S4_PT6_21rocsparse_index_base_b
; %bb.0:
	s_clause 0x2
	s_load_b64 s[12:13], s[0:1], 0x60
	s_load_b64 s[4:5], s[0:1], 0x8
	;; [unrolled: 1-line block ×3, first 2 shown]
	s_wait_kmcnt 0x0
	s_bitcmp1_b32 s13, 0
	v_dual_mov_b32 v1, s4 :: v_dual_mov_b32 v2, s5
	s_cselect_b32 s6, -1, 0
	s_delay_alu instid0(SALU_CYCLE_1)
	s_and_b32 vcc_lo, exec_lo, s6
	s_xor_b32 s6, s6, -1
	s_cbranch_vccnz .LBB82_2
; %bb.1:
	v_dual_mov_b32 v1, s4 :: v_dual_mov_b32 v2, s5
	flat_load_b64 v[1:2], v[1:2]
.LBB82_2:
	v_dual_mov_b32 v4, s3 :: v_dual_mov_b32 v3, s2
	s_and_not1_b32 vcc_lo, exec_lo, s6
	s_cbranch_vccnz .LBB82_4
; %bb.3:
	v_dual_mov_b32 v4, s3 :: v_dual_mov_b32 v3, s2
	flat_load_b64 v[3:4], v[3:4]
.LBB82_4:
	s_wait_loadcnt_dscnt 0x0
	v_cmp_neq_f64_e32 vcc_lo, 0, v[1:2]
	v_cmp_neq_f64_e64 s2, 1.0, v[3:4]
	s_or_b32 s2, vcc_lo, s2
	s_wait_alu 0xfffe
	s_and_saveexec_b32 s3, s2
	s_cbranch_execz .LBB82_27
; %bb.5:
	s_load_b64 s[2:3], s[0:1], 0x18
	s_wait_kmcnt 0x0
	s_cmp_eq_u64 s[2:3], 0
	s_cbranch_scc1 .LBB82_7
; %bb.6:
	s_mov_b32 s4, ttmp9
	s_ashr_i32 s5, ttmp9, 31
	s_wait_alu 0xfffe
	s_lshl_b64 s[4:5], s[4:5], 2
	s_wait_alu 0xfffe
	s_add_nc_u64 s[2:3], s[2:3], s[4:5]
	s_load_b32 s2, s[2:3], 0x0
	s_wait_kmcnt 0x0
	s_sub_co_i32 s20, s2, s12
	s_branch .LBB82_8
.LBB82_7:
	s_mov_b32 s20, ttmp9
.LBB82_8:
	s_load_b32 s14, s[0:1], 0x40
	v_lshrrev_b32_e32 v5, 4, v0
	s_wait_kmcnt 0x0
	s_delay_alu instid0(VALU_DEP_1)
	v_cmp_gt_i32_e32 vcc_lo, s14, v5
	s_and_b32 exec_lo, exec_lo, vcc_lo
	s_cbranch_execz .LBB82_27
; %bb.9:
	s_load_b256 s[4:11], s[0:1], 0x20
	s_ashr_i32 s21, s20, 31
	v_mbcnt_lo_u32_b32 v9, -1, 0
	s_lshl_b64 s[2:3], s[20:21], 2
	s_load_b32 s21, s[0:1], 0x0
	v_dual_mov_b32 v6, 0 :: v_dual_and_b32 v7, 15, v0
	s_delay_alu instid0(VALU_DEP_2)
	v_xor_b32_e32 v10, 8, v9
	v_xor_b32_e32 v11, 4, v9
	;; [unrolled: 1-line block ×4, first 2 shown]
	v_mul_lo_u32 v0, s14, v5
	v_cmp_gt_i32_e32 vcc_lo, 32, v10
	v_mul_lo_u32 v17, s14, v7
	s_mov_b32 s15, 0
	s_mul_i32 s25, s20, s14
	v_cndmask_b32_e32 v10, v9, v10, vcc_lo
	v_cmp_gt_i32_e32 vcc_lo, 32, v11
	v_mov_b32_e32 v8, v6
	s_wait_kmcnt 0x0
	s_add_nc_u64 s[18:19], s[4:5], s[2:3]
	s_add_nc_u64 s[2:3], s[6:7], s[2:3]
	s_load_b32 s13, s[18:19], 0x0
	s_clause 0x1
	s_load_b64 s[4:5], s[0:1], 0x58
	s_load_b64 s[16:17], s[0:1], 0x48
	v_cmp_eq_f64_e64 s0, 0, v[3:4]
	s_add_nc_u64 s[22:23], s[18:19], 4
	v_cndmask_b32_e32 v11, v9, v11, vcc_lo
	v_cmp_gt_i32_e32 vcc_lo, 32, v12
	v_cmp_gt_u32_e64 s1, s14, v7
	s_wait_alu 0xfffd
	s_delay_alu instid0(VALU_DEP_3)
	v_dual_cndmask_b32 v12, v9, v12 :: v_dual_lshlrev_b32 v19, 2, v11
	v_cmp_gt_i32_e32 vcc_lo, 32, v13
	s_wait_alu 0xfffd
	v_dual_cndmask_b32 v9, v9, v13 :: v_dual_lshlrev_b32 v18, 2, v10
	s_wait_kmcnt 0x0
	s_sub_co_i32 s18, s13, s12
	s_cmp_eq_u64 s[6:7], 0
	s_delay_alu instid0(VALU_DEP_1)
	v_lshlrev_b32_e32 v21, 2, v9
	s_cselect_b32 s3, s23, s3
	s_cselect_b32 s2, s22, s2
	v_lshlrev_b32_e32 v20, 2, v12
	s_load_b32 s19, s[2:3], 0x0
	v_cmp_eq_u32_e64 s2, 15, v7
	s_mul_u64 s[6:7], s[14:15], s[14:15]
	s_wait_kmcnt 0x0
	s_sub_co_i32 s3, s19, s12
	s_cmp_lt_i32 s13, s19
	s_cselect_b32 s13, -1, 0
	s_cmp_lg_u32 s21, 0
	s_cselect_b32 s24, -1, 0
	s_ashr_i32 s19, s18, 31
	s_delay_alu instid0(SALU_CYCLE_1)
	s_mul_u64 s[20:21], s[18:19], s[6:7]
	s_lshl_b32 s19, s14, 4
	s_branch .LBB82_11
.LBB82_10:                              ;   in Loop: Header=BB82_11 Depth=1
	s_wait_alu 0xfffe
	s_or_b32 exec_lo, exec_lo, s22
	v_add_nc_u32_e32 v5, 16, v5
	v_add_nc_u32_e32 v0, s19, v0
	s_delay_alu instid0(VALU_DEP_2)
	v_cmp_le_i32_e32 vcc_lo, s14, v5
	s_or_b32 s15, vcc_lo, s15
	s_wait_alu 0xfffe
	s_and_not1_b32 exec_lo, exec_lo, s15
	s_cbranch_execz .LBB82_27
.LBB82_11:                              ; =>This Loop Header: Depth=1
                                        ;     Child Loop BB82_15 Depth 2
                                        ;       Child Loop BB82_18 Depth 3
	v_mov_b32_e32 v9, 0
	v_mov_b32_e32 v10, 0
	s_and_not1_b32 vcc_lo, exec_lo, s13
	s_wait_alu 0xfffe
	s_cbranch_vccnz .LBB82_22
; %bb.12:                               ;   in Loop: Header=BB82_11 Depth=1
	s_wait_dscnt 0x1
	v_ashrrev_i32_e32 v11, 31, v0
	v_add_co_u32 v22, vcc_lo, s20, v0
	v_mov_b32_e32 v9, 0
	v_mov_b32_e32 v10, 0
	s_wait_alu 0xfffd
	v_add_co_ci_u32_e64 v23, null, s21, v11, vcc_lo
	s_mov_b32 s22, s18
	s_branch .LBB82_15
.LBB82_13:                              ;   in Loop: Header=BB82_15 Depth=2
	s_or_b32 exec_lo, exec_lo, s23
.LBB82_14:                              ;   in Loop: Header=BB82_15 Depth=2
	s_wait_alu 0xfffe
	s_or_b32 exec_lo, exec_lo, s26
	v_add_co_u32 v22, vcc_lo, v22, s6
	s_wait_alu 0xfffd
	v_add_co_ci_u32_e64 v23, null, s7, v23, vcc_lo
	s_add_co_i32 s22, s22, 1
	s_wait_alu 0xfffe
	s_cmp_ge_i32 s22, s3
	s_cbranch_scc1 .LBB82_22
.LBB82_15:                              ;   Parent Loop BB82_11 Depth=1
                                        ; =>  This Loop Header: Depth=2
                                        ;       Child Loop BB82_18 Depth 3
	s_and_saveexec_b32 s26, s1
	s_cbranch_execz .LBB82_14
; %bb.16:                               ;   in Loop: Header=BB82_15 Depth=2
	s_wait_alu 0xfffe
	s_ashr_i32 s23, s22, 31
	s_wait_dscnt 0x0
	v_mad_co_u64_u32 v[11:12], null, s6, s22, v[5:6]
	s_wait_alu 0xfffe
	s_lshl_b64 s[28:29], s[22:23], 2
	s_mul_i32 s23, s6, s23
	s_wait_alu 0xfffe
	s_add_nc_u64 s[28:29], s[8:9], s[28:29]
	v_mov_b32_e32 v14, v8
	s_load_b32 s27, s[28:29], 0x0
	s_mul_i32 s28, s7, s22
	v_dual_mov_b32 v24, v17 :: v_dual_mov_b32 v13, v7
	s_wait_alu 0xfffe
	v_add3_u32 v12, s23, s28, v12
	s_wait_kmcnt 0x0
	s_sub_co_i32 s23, s27, s12
	s_wait_alu 0xfffe
	s_mul_i32 s27, s23, s14
	s_mov_b32 s23, 0
	s_branch .LBB82_18
.LBB82_17:                              ;   in Loop: Header=BB82_18 Depth=3
	s_delay_alu instid0(VALU_DEP_1) | instskip(SKIP_1) | instid1(VALU_DEP_2)
	v_lshlrev_b64_e32 v[15:16], 2, v[15:16]
	v_add_nc_u32_e32 v24, s19, v24
	v_add_co_u32 v15, vcc_lo, s10, v15
	s_wait_alu 0xfffd
	s_delay_alu instid0(VALU_DEP_3) | instskip(SKIP_2) | instid1(VALU_DEP_1)
	v_add_co_ci_u32_e64 v16, null, s11, v16, vcc_lo
	global_load_b32 v25, v[15:16], off
	v_add_nc_u32_e32 v15, s27, v13
	v_ashrrev_i32_e32 v16, 31, v15
	s_delay_alu instid0(VALU_DEP_1) | instskip(NEXT) | instid1(VALU_DEP_1)
	v_lshlrev_b64_e32 v[15:16], 3, v[15:16]
	v_add_co_u32 v15, vcc_lo, s16, v15
	s_wait_alu 0xfffd
	s_delay_alu instid0(VALU_DEP_2)
	v_add_co_ci_u32_e64 v16, null, s17, v16, vcc_lo
	v_add_co_u32 v13, vcc_lo, v13, 16
	s_wait_alu 0xfffd
	v_add_co_ci_u32_e64 v14, null, 0, v14, vcc_lo
	global_load_b64 v[15:16], v[15:16], off
	v_cmp_le_i32_e32 vcc_lo, s14, v13
	s_or_b32 s23, vcc_lo, s23
	s_wait_loadcnt 0x1
	v_cvt_f64_f32_e32 v[25:26], v25
	s_wait_loadcnt 0x0
	s_delay_alu instid0(VALU_DEP_1)
	v_fma_f64 v[9:10], v[25:26], v[15:16], v[9:10]
	s_wait_alu 0xfffe
	s_and_not1_b32 exec_lo, exec_lo, s23
	s_cbranch_execz .LBB82_13
.LBB82_18:                              ;   Parent Loop BB82_11 Depth=1
                                        ;     Parent Loop BB82_15 Depth=2
                                        ; =>    This Inner Loop Header: Depth=3
	s_and_b32 vcc_lo, exec_lo, s24
	s_wait_alu 0xfffe
	s_cbranch_vccz .LBB82_20
; %bb.19:                               ;   in Loop: Header=BB82_18 Depth=3
	v_ashrrev_i32_e32 v16, 31, v24
	v_add_co_u32 v15, vcc_lo, v11, v24
	s_wait_alu 0xfffd
	s_delay_alu instid0(VALU_DEP_2)
	v_add_co_ci_u32_e64 v16, null, v12, v16, vcc_lo
	s_cbranch_execnz .LBB82_17
	s_branch .LBB82_21
.LBB82_20:                              ;   in Loop: Header=BB82_18 Depth=3
                                        ; implicit-def: $vgpr15_vgpr16
.LBB82_21:                              ;   in Loop: Header=BB82_18 Depth=3
	v_add_co_u32 v15, vcc_lo, v22, v13
	s_wait_alu 0xfffd
	v_add_co_ci_u32_e64 v16, null, v23, v14, vcc_lo
	s_branch .LBB82_17
.LBB82_22:                              ;   in Loop: Header=BB82_11 Depth=1
	s_wait_dscnt 0x1
	ds_bpermute_b32 v11, v18, v9
	s_wait_dscnt 0x1
	ds_bpermute_b32 v12, v18, v10
	s_wait_dscnt 0x0
	v_add_f64_e32 v[9:10], v[9:10], v[11:12]
	ds_bpermute_b32 v11, v19, v9
	ds_bpermute_b32 v12, v19, v10
	s_wait_dscnt 0x0
	v_add_f64_e32 v[9:10], v[9:10], v[11:12]
	ds_bpermute_b32 v11, v20, v9
	;; [unrolled: 4-line block ×3, first 2 shown]
	ds_bpermute_b32 v12, v21, v10
	s_and_saveexec_b32 s22, s2
	s_cbranch_execz .LBB82_10
; %bb.23:                               ;   in Loop: Header=BB82_11 Depth=1
	s_wait_dscnt 0x0
	v_add_f64_e32 v[9:10], v[9:10], v[11:12]
	v_add_nc_u32_e32 v11, s25, v5
	s_delay_alu instid0(VALU_DEP_1) | instskip(NEXT) | instid1(VALU_DEP_3)
	v_ashrrev_i32_e32 v12, 31, v11
	v_mul_f64_e32 v[9:10], v[1:2], v[9:10]
	s_and_saveexec_b32 s23, s0
	s_wait_alu 0xfffe
	s_xor_b32 s23, exec_lo, s23
	s_cbranch_execz .LBB82_25
; %bb.24:                               ;   in Loop: Header=BB82_11 Depth=1
	v_lshlrev_b64_e32 v[11:12], 3, v[11:12]
	s_delay_alu instid0(VALU_DEP_1) | instskip(SKIP_1) | instid1(VALU_DEP_2)
	v_add_co_u32 v11, vcc_lo, s4, v11
	s_wait_alu 0xfffd
	v_add_co_ci_u32_e64 v12, null, s5, v12, vcc_lo
	global_store_b64 v[11:12], v[9:10], off
                                        ; implicit-def: $vgpr11
                                        ; implicit-def: $vgpr9_vgpr10
.LBB82_25:                              ;   in Loop: Header=BB82_11 Depth=1
	s_wait_alu 0xfffe
	s_and_not1_saveexec_b32 s23, s23
	s_cbranch_execz .LBB82_10
; %bb.26:                               ;   in Loop: Header=BB82_11 Depth=1
	v_lshlrev_b64_e32 v[11:12], 3, v[11:12]
	s_delay_alu instid0(VALU_DEP_1) | instskip(SKIP_1) | instid1(VALU_DEP_2)
	v_add_co_u32 v11, vcc_lo, s4, v11
	s_wait_alu 0xfffd
	v_add_co_ci_u32_e64 v12, null, s5, v12, vcc_lo
	global_load_b64 v[13:14], v[11:12], off
	s_wait_loadcnt 0x0
	v_fma_f64 v[9:10], v[3:4], v[13:14], v[9:10]
	global_store_b64 v[11:12], v[9:10], off
	s_branch .LBB82_10
.LBB82_27:
	s_endpgm
	.section	.rodata,"a",@progbits
	.p2align	6, 0x0
	.amdhsa_kernel _ZN9rocsparseL22bsrxmvn_general_kernelILj256ELj16EdiifddEEv20rocsparse_direction_NS_24const_host_device_scalarIT1_EET3_PKS5_PKT2_SA_S7_PKT4_S5_PKT5_S4_PT6_21rocsparse_index_base_b
		.amdhsa_group_segment_fixed_size 0
		.amdhsa_private_segment_fixed_size 0
		.amdhsa_kernarg_size 104
		.amdhsa_user_sgpr_count 2
		.amdhsa_user_sgpr_dispatch_ptr 0
		.amdhsa_user_sgpr_queue_ptr 0
		.amdhsa_user_sgpr_kernarg_segment_ptr 1
		.amdhsa_user_sgpr_dispatch_id 0
		.amdhsa_user_sgpr_private_segment_size 0
		.amdhsa_wavefront_size32 1
		.amdhsa_uses_dynamic_stack 0
		.amdhsa_enable_private_segment 0
		.amdhsa_system_sgpr_workgroup_id_x 1
		.amdhsa_system_sgpr_workgroup_id_y 0
		.amdhsa_system_sgpr_workgroup_id_z 0
		.amdhsa_system_sgpr_workgroup_info 0
		.amdhsa_system_vgpr_workitem_id 0
		.amdhsa_next_free_vgpr 27
		.amdhsa_next_free_sgpr 30
		.amdhsa_reserve_vcc 1
		.amdhsa_float_round_mode_32 0
		.amdhsa_float_round_mode_16_64 0
		.amdhsa_float_denorm_mode_32 3
		.amdhsa_float_denorm_mode_16_64 3
		.amdhsa_fp16_overflow 0
		.amdhsa_workgroup_processor_mode 1
		.amdhsa_memory_ordered 1
		.amdhsa_forward_progress 1
		.amdhsa_inst_pref_size 11
		.amdhsa_round_robin_scheduling 0
		.amdhsa_exception_fp_ieee_invalid_op 0
		.amdhsa_exception_fp_denorm_src 0
		.amdhsa_exception_fp_ieee_div_zero 0
		.amdhsa_exception_fp_ieee_overflow 0
		.amdhsa_exception_fp_ieee_underflow 0
		.amdhsa_exception_fp_ieee_inexact 0
		.amdhsa_exception_int_div_zero 0
	.end_amdhsa_kernel
	.section	.text._ZN9rocsparseL22bsrxmvn_general_kernelILj256ELj16EdiifddEEv20rocsparse_direction_NS_24const_host_device_scalarIT1_EET3_PKS5_PKT2_SA_S7_PKT4_S5_PKT5_S4_PT6_21rocsparse_index_base_b,"axG",@progbits,_ZN9rocsparseL22bsrxmvn_general_kernelILj256ELj16EdiifddEEv20rocsparse_direction_NS_24const_host_device_scalarIT1_EET3_PKS5_PKT2_SA_S7_PKT4_S5_PKT5_S4_PT6_21rocsparse_index_base_b,comdat
.Lfunc_end82:
	.size	_ZN9rocsparseL22bsrxmvn_general_kernelILj256ELj16EdiifddEEv20rocsparse_direction_NS_24const_host_device_scalarIT1_EET3_PKS5_PKT2_SA_S7_PKT4_S5_PKT5_S4_PT6_21rocsparse_index_base_b, .Lfunc_end82-_ZN9rocsparseL22bsrxmvn_general_kernelILj256ELj16EdiifddEEv20rocsparse_direction_NS_24const_host_device_scalarIT1_EET3_PKS5_PKT2_SA_S7_PKT4_S5_PKT5_S4_PT6_21rocsparse_index_base_b
                                        ; -- End function
	.set _ZN9rocsparseL22bsrxmvn_general_kernelILj256ELj16EdiifddEEv20rocsparse_direction_NS_24const_host_device_scalarIT1_EET3_PKS5_PKT2_SA_S7_PKT4_S5_PKT5_S4_PT6_21rocsparse_index_base_b.num_vgpr, 27
	.set _ZN9rocsparseL22bsrxmvn_general_kernelILj256ELj16EdiifddEEv20rocsparse_direction_NS_24const_host_device_scalarIT1_EET3_PKS5_PKT2_SA_S7_PKT4_S5_PKT5_S4_PT6_21rocsparse_index_base_b.num_agpr, 0
	.set _ZN9rocsparseL22bsrxmvn_general_kernelILj256ELj16EdiifddEEv20rocsparse_direction_NS_24const_host_device_scalarIT1_EET3_PKS5_PKT2_SA_S7_PKT4_S5_PKT5_S4_PT6_21rocsparse_index_base_b.numbered_sgpr, 30
	.set _ZN9rocsparseL22bsrxmvn_general_kernelILj256ELj16EdiifddEEv20rocsparse_direction_NS_24const_host_device_scalarIT1_EET3_PKS5_PKT2_SA_S7_PKT4_S5_PKT5_S4_PT6_21rocsparse_index_base_b.num_named_barrier, 0
	.set _ZN9rocsparseL22bsrxmvn_general_kernelILj256ELj16EdiifddEEv20rocsparse_direction_NS_24const_host_device_scalarIT1_EET3_PKS5_PKT2_SA_S7_PKT4_S5_PKT5_S4_PT6_21rocsparse_index_base_b.private_seg_size, 0
	.set _ZN9rocsparseL22bsrxmvn_general_kernelILj256ELj16EdiifddEEv20rocsparse_direction_NS_24const_host_device_scalarIT1_EET3_PKS5_PKT2_SA_S7_PKT4_S5_PKT5_S4_PT6_21rocsparse_index_base_b.uses_vcc, 1
	.set _ZN9rocsparseL22bsrxmvn_general_kernelILj256ELj16EdiifddEEv20rocsparse_direction_NS_24const_host_device_scalarIT1_EET3_PKS5_PKT2_SA_S7_PKT4_S5_PKT5_S4_PT6_21rocsparse_index_base_b.uses_flat_scratch, 0
	.set _ZN9rocsparseL22bsrxmvn_general_kernelILj256ELj16EdiifddEEv20rocsparse_direction_NS_24const_host_device_scalarIT1_EET3_PKS5_PKT2_SA_S7_PKT4_S5_PKT5_S4_PT6_21rocsparse_index_base_b.has_dyn_sized_stack, 0
	.set _ZN9rocsparseL22bsrxmvn_general_kernelILj256ELj16EdiifddEEv20rocsparse_direction_NS_24const_host_device_scalarIT1_EET3_PKS5_PKT2_SA_S7_PKT4_S5_PKT5_S4_PT6_21rocsparse_index_base_b.has_recursion, 0
	.set _ZN9rocsparseL22bsrxmvn_general_kernelILj256ELj16EdiifddEEv20rocsparse_direction_NS_24const_host_device_scalarIT1_EET3_PKS5_PKT2_SA_S7_PKT4_S5_PKT5_S4_PT6_21rocsparse_index_base_b.has_indirect_call, 0
	.section	.AMDGPU.csdata,"",@progbits
; Kernel info:
; codeLenInByte = 1312
; TotalNumSgprs: 32
; NumVgprs: 27
; ScratchSize: 0
; MemoryBound: 0
; FloatMode: 240
; IeeeMode: 1
; LDSByteSize: 0 bytes/workgroup (compile time only)
; SGPRBlocks: 0
; VGPRBlocks: 3
; NumSGPRsForWavesPerEU: 32
; NumVGPRsForWavesPerEU: 27
; Occupancy: 16
; WaveLimiterHint : 1
; COMPUTE_PGM_RSRC2:SCRATCH_EN: 0
; COMPUTE_PGM_RSRC2:USER_SGPR: 2
; COMPUTE_PGM_RSRC2:TRAP_HANDLER: 0
; COMPUTE_PGM_RSRC2:TGID_X_EN: 1
; COMPUTE_PGM_RSRC2:TGID_Y_EN: 0
; COMPUTE_PGM_RSRC2:TGID_Z_EN: 0
; COMPUTE_PGM_RSRC2:TIDIG_COMP_CNT: 0
	.section	.text._ZN9rocsparseL22bsrxmvn_general_kernelILj1024ELj32EdiifddEEv20rocsparse_direction_NS_24const_host_device_scalarIT1_EET3_PKS5_PKT2_SA_S7_PKT4_S5_PKT5_S4_PT6_21rocsparse_index_base_b,"axG",@progbits,_ZN9rocsparseL22bsrxmvn_general_kernelILj1024ELj32EdiifddEEv20rocsparse_direction_NS_24const_host_device_scalarIT1_EET3_PKS5_PKT2_SA_S7_PKT4_S5_PKT5_S4_PT6_21rocsparse_index_base_b,comdat
	.globl	_ZN9rocsparseL22bsrxmvn_general_kernelILj1024ELj32EdiifddEEv20rocsparse_direction_NS_24const_host_device_scalarIT1_EET3_PKS5_PKT2_SA_S7_PKT4_S5_PKT5_S4_PT6_21rocsparse_index_base_b ; -- Begin function _ZN9rocsparseL22bsrxmvn_general_kernelILj1024ELj32EdiifddEEv20rocsparse_direction_NS_24const_host_device_scalarIT1_EET3_PKS5_PKT2_SA_S7_PKT4_S5_PKT5_S4_PT6_21rocsparse_index_base_b
	.p2align	8
	.type	_ZN9rocsparseL22bsrxmvn_general_kernelILj1024ELj32EdiifddEEv20rocsparse_direction_NS_24const_host_device_scalarIT1_EET3_PKS5_PKT2_SA_S7_PKT4_S5_PKT5_S4_PT6_21rocsparse_index_base_b,@function
_ZN9rocsparseL22bsrxmvn_general_kernelILj1024ELj32EdiifddEEv20rocsparse_direction_NS_24const_host_device_scalarIT1_EET3_PKS5_PKT2_SA_S7_PKT4_S5_PKT5_S4_PT6_21rocsparse_index_base_b: ; @_ZN9rocsparseL22bsrxmvn_general_kernelILj1024ELj32EdiifddEEv20rocsparse_direction_NS_24const_host_device_scalarIT1_EET3_PKS5_PKT2_SA_S7_PKT4_S5_PKT5_S4_PT6_21rocsparse_index_base_b
; %bb.0:
	s_clause 0x2
	s_load_b64 s[12:13], s[0:1], 0x60
	s_load_b64 s[4:5], s[0:1], 0x8
	;; [unrolled: 1-line block ×3, first 2 shown]
	s_wait_kmcnt 0x0
	s_bitcmp1_b32 s13, 0
	v_dual_mov_b32 v1, s4 :: v_dual_mov_b32 v2, s5
	s_cselect_b32 s6, -1, 0
	s_delay_alu instid0(SALU_CYCLE_1)
	s_and_b32 vcc_lo, exec_lo, s6
	s_xor_b32 s6, s6, -1
	s_cbranch_vccnz .LBB83_2
; %bb.1:
	v_dual_mov_b32 v1, s4 :: v_dual_mov_b32 v2, s5
	flat_load_b64 v[1:2], v[1:2]
.LBB83_2:
	v_dual_mov_b32 v4, s3 :: v_dual_mov_b32 v3, s2
	s_and_not1_b32 vcc_lo, exec_lo, s6
	s_cbranch_vccnz .LBB83_4
; %bb.3:
	v_dual_mov_b32 v4, s3 :: v_dual_mov_b32 v3, s2
	flat_load_b64 v[3:4], v[3:4]
.LBB83_4:
	s_wait_loadcnt_dscnt 0x0
	v_cmp_neq_f64_e32 vcc_lo, 0, v[1:2]
	v_cmp_neq_f64_e64 s2, 1.0, v[3:4]
	s_or_b32 s2, vcc_lo, s2
	s_wait_alu 0xfffe
	s_and_saveexec_b32 s3, s2
	s_cbranch_execz .LBB83_27
; %bb.5:
	s_load_b64 s[2:3], s[0:1], 0x18
	s_wait_kmcnt 0x0
	s_cmp_eq_u64 s[2:3], 0
	s_cbranch_scc1 .LBB83_7
; %bb.6:
	s_mov_b32 s4, ttmp9
	s_ashr_i32 s5, ttmp9, 31
	s_wait_alu 0xfffe
	s_lshl_b64 s[4:5], s[4:5], 2
	s_wait_alu 0xfffe
	s_add_nc_u64 s[2:3], s[2:3], s[4:5]
	s_load_b32 s2, s[2:3], 0x0
	s_wait_kmcnt 0x0
	s_sub_co_i32 s22, s2, s12
	s_branch .LBB83_8
.LBB83_7:
	s_mov_b32 s22, ttmp9
.LBB83_8:
	s_load_b32 s14, s[0:1], 0x40
	v_lshrrev_b32_e32 v5, 5, v0
	s_wait_kmcnt 0x0
	s_delay_alu instid0(VALU_DEP_1)
	v_cmp_gt_i32_e32 vcc_lo, s14, v5
	s_and_b32 exec_lo, exec_lo, vcc_lo
	s_cbranch_execz .LBB83_27
; %bb.9:
	s_load_b256 s[4:11], s[0:1], 0x20
	s_ashr_i32 s23, s22, 31
	v_mbcnt_lo_u32_b32 v9, -1, 0
	s_lshl_b64 s[2:3], s[22:23], 2
	s_load_b32 s23, s[0:1], 0x0
	v_dual_mov_b32 v6, 0 :: v_dual_and_b32 v7, 31, v0
	s_delay_alu instid0(VALU_DEP_2)
	v_xor_b32_e32 v10, 16, v9
	v_xor_b32_e32 v11, 8, v9
	;; [unrolled: 1-line block ×5, first 2 shown]
	v_cmp_gt_i32_e32 vcc_lo, 32, v10
	v_mul_lo_u32 v0, s14, v5
	v_mul_lo_u32 v17, s14, v7
	s_mov_b32 s15, 0
	v_cndmask_b32_e32 v10, v9, v10, vcc_lo
	v_cmp_gt_i32_e32 vcc_lo, 32, v11
	v_mov_b32_e32 v8, v6
	s_wait_kmcnt 0x0
	s_add_nc_u64 s[20:21], s[4:5], s[2:3]
	s_add_nc_u64 s[2:3], s[6:7], s[2:3]
	s_load_b32 s13, s[20:21], 0x0
	s_clause 0x1
	s_load_b64 s[4:5], s[0:1], 0x58
	s_load_b64 s[16:17], s[0:1], 0x48
	v_cmp_eq_f64_e64 s0, 0, v[3:4]
	s_add_nc_u64 s[24:25], s[20:21], 4
	v_cndmask_b32_e32 v11, v9, v11, vcc_lo
	v_cmp_gt_i32_e32 vcc_lo, 32, v12
	v_cmp_gt_u32_e64 s1, s14, v7
	s_mul_u64 s[18:19], s[14:15], s[14:15]
	s_wait_alu 0xfffd
	v_dual_cndmask_b32 v12, v9, v12 :: v_dual_lshlrev_b32 v19, 2, v11
	v_cmp_gt_i32_e32 vcc_lo, 32, v13
	s_wait_alu 0xfffd
	v_dual_cndmask_b32 v13, v9, v13 :: v_dual_lshlrev_b32 v18, 2, v10
	v_cmp_gt_i32_e32 vcc_lo, 32, v14
	s_wait_kmcnt 0x0
	s_sub_co_i32 s20, s13, s12
	s_cmp_eq_u64 s[6:7], 0
	v_lshlrev_b32_e32 v21, 2, v13
	s_cselect_b32 s3, s25, s3
	s_cselect_b32 s2, s24, s2
	s_wait_alu 0xfffd
	v_dual_cndmask_b32 v9, v9, v14 :: v_dual_lshlrev_b32 v20, 2, v12
	s_load_b32 s6, s[2:3], 0x0
	v_cmp_eq_u32_e64 s2, 31, v7
	s_mul_i32 s25, s22, s14
	v_lshlrev_b32_e32 v22, 2, v9
	s_wait_kmcnt 0x0
	s_sub_co_i32 s3, s6, s12
	s_cmp_lt_i32 s13, s6
	s_cselect_b32 s13, -1, 0
	s_cmp_lg_u32 s23, 0
	s_cselect_b32 s24, -1, 0
	s_ashr_i32 s21, s20, 31
	s_delay_alu instid0(SALU_CYCLE_1)
	s_mul_u64 s[6:7], s[20:21], s[18:19]
	s_lshl_b32 s21, s14, 5
	s_branch .LBB83_11
.LBB83_10:                              ;   in Loop: Header=BB83_11 Depth=1
	s_wait_alu 0xfffe
	s_or_b32 exec_lo, exec_lo, s22
	v_add_nc_u32_e32 v5, 32, v5
	v_add_nc_u32_e32 v0, s21, v0
	s_delay_alu instid0(VALU_DEP_2)
	v_cmp_le_i32_e32 vcc_lo, s14, v5
	s_or_b32 s15, vcc_lo, s15
	s_wait_alu 0xfffe
	s_and_not1_b32 exec_lo, exec_lo, s15
	s_cbranch_execz .LBB83_27
.LBB83_11:                              ; =>This Loop Header: Depth=1
                                        ;     Child Loop BB83_15 Depth 2
                                        ;       Child Loop BB83_18 Depth 3
	v_mov_b32_e32 v9, 0
	v_mov_b32_e32 v10, 0
	s_and_not1_b32 vcc_lo, exec_lo, s13
	s_wait_alu 0xfffe
	s_cbranch_vccnz .LBB83_22
; %bb.12:                               ;   in Loop: Header=BB83_11 Depth=1
	s_wait_dscnt 0x1
	v_ashrrev_i32_e32 v11, 31, v0
	v_add_co_u32 v23, vcc_lo, s6, v0
	v_mov_b32_e32 v9, 0
	v_mov_b32_e32 v10, 0
	s_wait_alu 0xfffd
	v_add_co_ci_u32_e64 v24, null, s7, v11, vcc_lo
	s_mov_b32 s22, s20
	s_branch .LBB83_15
.LBB83_13:                              ;   in Loop: Header=BB83_15 Depth=2
	s_or_b32 exec_lo, exec_lo, s23
.LBB83_14:                              ;   in Loop: Header=BB83_15 Depth=2
	s_wait_alu 0xfffe
	s_or_b32 exec_lo, exec_lo, s26
	v_add_co_u32 v23, vcc_lo, v23, s18
	s_wait_alu 0xfffd
	v_add_co_ci_u32_e64 v24, null, s19, v24, vcc_lo
	s_add_co_i32 s22, s22, 1
	s_wait_alu 0xfffe
	s_cmp_ge_i32 s22, s3
	s_cbranch_scc1 .LBB83_22
.LBB83_15:                              ;   Parent Loop BB83_11 Depth=1
                                        ; =>  This Loop Header: Depth=2
                                        ;       Child Loop BB83_18 Depth 3
	s_and_saveexec_b32 s26, s1
	s_cbranch_execz .LBB83_14
; %bb.16:                               ;   in Loop: Header=BB83_15 Depth=2
	s_wait_alu 0xfffe
	s_ashr_i32 s23, s22, 31
	s_wait_dscnt 0x0
	v_mad_co_u64_u32 v[11:12], null, s18, s22, v[5:6]
	s_wait_alu 0xfffe
	s_lshl_b64 s[28:29], s[22:23], 2
	s_mul_i32 s23, s18, s23
	s_wait_alu 0xfffe
	s_add_nc_u64 s[28:29], s[8:9], s[28:29]
	v_dual_mov_b32 v25, v17 :: v_dual_mov_b32 v14, v8
	s_load_b32 s27, s[28:29], 0x0
	s_mul_i32 s28, s19, s22
	v_mov_b32_e32 v13, v7
	s_wait_alu 0xfffe
	v_add3_u32 v12, s23, s28, v12
	s_wait_kmcnt 0x0
	s_sub_co_i32 s23, s27, s12
	s_wait_alu 0xfffe
	s_mul_i32 s27, s23, s14
	s_mov_b32 s23, 0
	s_branch .LBB83_18
.LBB83_17:                              ;   in Loop: Header=BB83_18 Depth=3
	s_delay_alu instid0(VALU_DEP_1) | instskip(SKIP_1) | instid1(VALU_DEP_2)
	v_lshlrev_b64_e32 v[15:16], 2, v[15:16]
	v_add_nc_u32_e32 v25, s21, v25
	v_add_co_u32 v15, vcc_lo, s10, v15
	s_wait_alu 0xfffd
	s_delay_alu instid0(VALU_DEP_3) | instskip(SKIP_2) | instid1(VALU_DEP_1)
	v_add_co_ci_u32_e64 v16, null, s11, v16, vcc_lo
	global_load_b32 v26, v[15:16], off
	v_add_nc_u32_e32 v15, s27, v13
	v_ashrrev_i32_e32 v16, 31, v15
	s_delay_alu instid0(VALU_DEP_1) | instskip(NEXT) | instid1(VALU_DEP_1)
	v_lshlrev_b64_e32 v[15:16], 3, v[15:16]
	v_add_co_u32 v15, vcc_lo, s16, v15
	s_wait_alu 0xfffd
	s_delay_alu instid0(VALU_DEP_2)
	v_add_co_ci_u32_e64 v16, null, s17, v16, vcc_lo
	v_add_co_u32 v13, vcc_lo, v13, 32
	s_wait_alu 0xfffd
	v_add_co_ci_u32_e64 v14, null, 0, v14, vcc_lo
	global_load_b64 v[15:16], v[15:16], off
	v_cmp_le_i32_e32 vcc_lo, s14, v13
	s_or_b32 s23, vcc_lo, s23
	s_wait_loadcnt 0x1
	v_cvt_f64_f32_e32 v[26:27], v26
	s_wait_loadcnt 0x0
	s_delay_alu instid0(VALU_DEP_1)
	v_fma_f64 v[9:10], v[26:27], v[15:16], v[9:10]
	s_wait_alu 0xfffe
	s_and_not1_b32 exec_lo, exec_lo, s23
	s_cbranch_execz .LBB83_13
.LBB83_18:                              ;   Parent Loop BB83_11 Depth=1
                                        ;     Parent Loop BB83_15 Depth=2
                                        ; =>    This Inner Loop Header: Depth=3
	s_and_b32 vcc_lo, exec_lo, s24
	s_wait_alu 0xfffe
	s_cbranch_vccz .LBB83_20
; %bb.19:                               ;   in Loop: Header=BB83_18 Depth=3
	v_ashrrev_i32_e32 v16, 31, v25
	v_add_co_u32 v15, vcc_lo, v11, v25
	s_wait_alu 0xfffd
	s_delay_alu instid0(VALU_DEP_2)
	v_add_co_ci_u32_e64 v16, null, v12, v16, vcc_lo
	s_cbranch_execnz .LBB83_17
	s_branch .LBB83_21
.LBB83_20:                              ;   in Loop: Header=BB83_18 Depth=3
                                        ; implicit-def: $vgpr15_vgpr16
.LBB83_21:                              ;   in Loop: Header=BB83_18 Depth=3
	v_add_co_u32 v15, vcc_lo, v23, v13
	s_wait_alu 0xfffd
	v_add_co_ci_u32_e64 v16, null, v24, v14, vcc_lo
	s_branch .LBB83_17
.LBB83_22:                              ;   in Loop: Header=BB83_11 Depth=1
	s_wait_dscnt 0x1
	ds_bpermute_b32 v11, v18, v9
	s_wait_dscnt 0x1
	ds_bpermute_b32 v12, v18, v10
	s_wait_dscnt 0x0
	v_add_f64_e32 v[9:10], v[9:10], v[11:12]
	ds_bpermute_b32 v11, v19, v9
	ds_bpermute_b32 v12, v19, v10
	s_wait_dscnt 0x0
	v_add_f64_e32 v[9:10], v[9:10], v[11:12]
	ds_bpermute_b32 v11, v20, v9
	;; [unrolled: 4-line block ×4, first 2 shown]
	ds_bpermute_b32 v12, v22, v10
	s_and_saveexec_b32 s22, s2
	s_cbranch_execz .LBB83_10
; %bb.23:                               ;   in Loop: Header=BB83_11 Depth=1
	s_wait_dscnt 0x0
	v_add_f64_e32 v[9:10], v[9:10], v[11:12]
	v_add_nc_u32_e32 v11, s25, v5
	s_delay_alu instid0(VALU_DEP_1) | instskip(NEXT) | instid1(VALU_DEP_3)
	v_ashrrev_i32_e32 v12, 31, v11
	v_mul_f64_e32 v[9:10], v[1:2], v[9:10]
	s_and_saveexec_b32 s23, s0
	s_wait_alu 0xfffe
	s_xor_b32 s23, exec_lo, s23
	s_cbranch_execz .LBB83_25
; %bb.24:                               ;   in Loop: Header=BB83_11 Depth=1
	v_lshlrev_b64_e32 v[11:12], 3, v[11:12]
	s_delay_alu instid0(VALU_DEP_1) | instskip(SKIP_1) | instid1(VALU_DEP_2)
	v_add_co_u32 v11, vcc_lo, s4, v11
	s_wait_alu 0xfffd
	v_add_co_ci_u32_e64 v12, null, s5, v12, vcc_lo
	global_store_b64 v[11:12], v[9:10], off
                                        ; implicit-def: $vgpr11
                                        ; implicit-def: $vgpr9_vgpr10
.LBB83_25:                              ;   in Loop: Header=BB83_11 Depth=1
	s_wait_alu 0xfffe
	s_and_not1_saveexec_b32 s23, s23
	s_cbranch_execz .LBB83_10
; %bb.26:                               ;   in Loop: Header=BB83_11 Depth=1
	v_lshlrev_b64_e32 v[11:12], 3, v[11:12]
	s_delay_alu instid0(VALU_DEP_1) | instskip(SKIP_1) | instid1(VALU_DEP_2)
	v_add_co_u32 v11, vcc_lo, s4, v11
	s_wait_alu 0xfffd
	v_add_co_ci_u32_e64 v12, null, s5, v12, vcc_lo
	global_load_b64 v[13:14], v[11:12], off
	s_wait_loadcnt 0x0
	v_fma_f64 v[9:10], v[3:4], v[13:14], v[9:10]
	global_store_b64 v[11:12], v[9:10], off
	s_branch .LBB83_10
.LBB83_27:
	s_endpgm
	.section	.rodata,"a",@progbits
	.p2align	6, 0x0
	.amdhsa_kernel _ZN9rocsparseL22bsrxmvn_general_kernelILj1024ELj32EdiifddEEv20rocsparse_direction_NS_24const_host_device_scalarIT1_EET3_PKS5_PKT2_SA_S7_PKT4_S5_PKT5_S4_PT6_21rocsparse_index_base_b
		.amdhsa_group_segment_fixed_size 0
		.amdhsa_private_segment_fixed_size 0
		.amdhsa_kernarg_size 104
		.amdhsa_user_sgpr_count 2
		.amdhsa_user_sgpr_dispatch_ptr 0
		.amdhsa_user_sgpr_queue_ptr 0
		.amdhsa_user_sgpr_kernarg_segment_ptr 1
		.amdhsa_user_sgpr_dispatch_id 0
		.amdhsa_user_sgpr_private_segment_size 0
		.amdhsa_wavefront_size32 1
		.amdhsa_uses_dynamic_stack 0
		.amdhsa_enable_private_segment 0
		.amdhsa_system_sgpr_workgroup_id_x 1
		.amdhsa_system_sgpr_workgroup_id_y 0
		.amdhsa_system_sgpr_workgroup_id_z 0
		.amdhsa_system_sgpr_workgroup_info 0
		.amdhsa_system_vgpr_workitem_id 0
		.amdhsa_next_free_vgpr 28
		.amdhsa_next_free_sgpr 30
		.amdhsa_reserve_vcc 1
		.amdhsa_float_round_mode_32 0
		.amdhsa_float_round_mode_16_64 0
		.amdhsa_float_denorm_mode_32 3
		.amdhsa_float_denorm_mode_16_64 3
		.amdhsa_fp16_overflow 0
		.amdhsa_workgroup_processor_mode 1
		.amdhsa_memory_ordered 1
		.amdhsa_forward_progress 1
		.amdhsa_inst_pref_size 11
		.amdhsa_round_robin_scheduling 0
		.amdhsa_exception_fp_ieee_invalid_op 0
		.amdhsa_exception_fp_denorm_src 0
		.amdhsa_exception_fp_ieee_div_zero 0
		.amdhsa_exception_fp_ieee_overflow 0
		.amdhsa_exception_fp_ieee_underflow 0
		.amdhsa_exception_fp_ieee_inexact 0
		.amdhsa_exception_int_div_zero 0
	.end_amdhsa_kernel
	.section	.text._ZN9rocsparseL22bsrxmvn_general_kernelILj1024ELj32EdiifddEEv20rocsparse_direction_NS_24const_host_device_scalarIT1_EET3_PKS5_PKT2_SA_S7_PKT4_S5_PKT5_S4_PT6_21rocsparse_index_base_b,"axG",@progbits,_ZN9rocsparseL22bsrxmvn_general_kernelILj1024ELj32EdiifddEEv20rocsparse_direction_NS_24const_host_device_scalarIT1_EET3_PKS5_PKT2_SA_S7_PKT4_S5_PKT5_S4_PT6_21rocsparse_index_base_b,comdat
.Lfunc_end83:
	.size	_ZN9rocsparseL22bsrxmvn_general_kernelILj1024ELj32EdiifddEEv20rocsparse_direction_NS_24const_host_device_scalarIT1_EET3_PKS5_PKT2_SA_S7_PKT4_S5_PKT5_S4_PT6_21rocsparse_index_base_b, .Lfunc_end83-_ZN9rocsparseL22bsrxmvn_general_kernelILj1024ELj32EdiifddEEv20rocsparse_direction_NS_24const_host_device_scalarIT1_EET3_PKS5_PKT2_SA_S7_PKT4_S5_PKT5_S4_PT6_21rocsparse_index_base_b
                                        ; -- End function
	.set _ZN9rocsparseL22bsrxmvn_general_kernelILj1024ELj32EdiifddEEv20rocsparse_direction_NS_24const_host_device_scalarIT1_EET3_PKS5_PKT2_SA_S7_PKT4_S5_PKT5_S4_PT6_21rocsparse_index_base_b.num_vgpr, 28
	.set _ZN9rocsparseL22bsrxmvn_general_kernelILj1024ELj32EdiifddEEv20rocsparse_direction_NS_24const_host_device_scalarIT1_EET3_PKS5_PKT2_SA_S7_PKT4_S5_PKT5_S4_PT6_21rocsparse_index_base_b.num_agpr, 0
	.set _ZN9rocsparseL22bsrxmvn_general_kernelILj1024ELj32EdiifddEEv20rocsparse_direction_NS_24const_host_device_scalarIT1_EET3_PKS5_PKT2_SA_S7_PKT4_S5_PKT5_S4_PT6_21rocsparse_index_base_b.numbered_sgpr, 30
	.set _ZN9rocsparseL22bsrxmvn_general_kernelILj1024ELj32EdiifddEEv20rocsparse_direction_NS_24const_host_device_scalarIT1_EET3_PKS5_PKT2_SA_S7_PKT4_S5_PKT5_S4_PT6_21rocsparse_index_base_b.num_named_barrier, 0
	.set _ZN9rocsparseL22bsrxmvn_general_kernelILj1024ELj32EdiifddEEv20rocsparse_direction_NS_24const_host_device_scalarIT1_EET3_PKS5_PKT2_SA_S7_PKT4_S5_PKT5_S4_PT6_21rocsparse_index_base_b.private_seg_size, 0
	.set _ZN9rocsparseL22bsrxmvn_general_kernelILj1024ELj32EdiifddEEv20rocsparse_direction_NS_24const_host_device_scalarIT1_EET3_PKS5_PKT2_SA_S7_PKT4_S5_PKT5_S4_PT6_21rocsparse_index_base_b.uses_vcc, 1
	.set _ZN9rocsparseL22bsrxmvn_general_kernelILj1024ELj32EdiifddEEv20rocsparse_direction_NS_24const_host_device_scalarIT1_EET3_PKS5_PKT2_SA_S7_PKT4_S5_PKT5_S4_PT6_21rocsparse_index_base_b.uses_flat_scratch, 0
	.set _ZN9rocsparseL22bsrxmvn_general_kernelILj1024ELj32EdiifddEEv20rocsparse_direction_NS_24const_host_device_scalarIT1_EET3_PKS5_PKT2_SA_S7_PKT4_S5_PKT5_S4_PT6_21rocsparse_index_base_b.has_dyn_sized_stack, 0
	.set _ZN9rocsparseL22bsrxmvn_general_kernelILj1024ELj32EdiifddEEv20rocsparse_direction_NS_24const_host_device_scalarIT1_EET3_PKS5_PKT2_SA_S7_PKT4_S5_PKT5_S4_PT6_21rocsparse_index_base_b.has_recursion, 0
	.set _ZN9rocsparseL22bsrxmvn_general_kernelILj1024ELj32EdiifddEEv20rocsparse_direction_NS_24const_host_device_scalarIT1_EET3_PKS5_PKT2_SA_S7_PKT4_S5_PKT5_S4_PT6_21rocsparse_index_base_b.has_indirect_call, 0
	.section	.AMDGPU.csdata,"",@progbits
; Kernel info:
; codeLenInByte = 1348
; TotalNumSgprs: 32
; NumVgprs: 28
; ScratchSize: 0
; MemoryBound: 0
; FloatMode: 240
; IeeeMode: 1
; LDSByteSize: 0 bytes/workgroup (compile time only)
; SGPRBlocks: 0
; VGPRBlocks: 3
; NumSGPRsForWavesPerEU: 32
; NumVGPRsForWavesPerEU: 28
; Occupancy: 16
; WaveLimiterHint : 1
; COMPUTE_PGM_RSRC2:SCRATCH_EN: 0
; COMPUTE_PGM_RSRC2:USER_SGPR: 2
; COMPUTE_PGM_RSRC2:TRAP_HANDLER: 0
; COMPUTE_PGM_RSRC2:TGID_X_EN: 1
; COMPUTE_PGM_RSRC2:TGID_Y_EN: 0
; COMPUTE_PGM_RSRC2:TGID_Z_EN: 0
; COMPUTE_PGM_RSRC2:TIDIG_COMP_CNT: 0
	.section	.text._ZN9rocsparseL22bsrxmvn_general_kernelILj64ELj8EdlifddEEv20rocsparse_direction_NS_24const_host_device_scalarIT1_EET3_PKS5_PKT2_SA_S7_PKT4_S5_PKT5_S4_PT6_21rocsparse_index_base_b,"axG",@progbits,_ZN9rocsparseL22bsrxmvn_general_kernelILj64ELj8EdlifddEEv20rocsparse_direction_NS_24const_host_device_scalarIT1_EET3_PKS5_PKT2_SA_S7_PKT4_S5_PKT5_S4_PT6_21rocsparse_index_base_b,comdat
	.globl	_ZN9rocsparseL22bsrxmvn_general_kernelILj64ELj8EdlifddEEv20rocsparse_direction_NS_24const_host_device_scalarIT1_EET3_PKS5_PKT2_SA_S7_PKT4_S5_PKT5_S4_PT6_21rocsparse_index_base_b ; -- Begin function _ZN9rocsparseL22bsrxmvn_general_kernelILj64ELj8EdlifddEEv20rocsparse_direction_NS_24const_host_device_scalarIT1_EET3_PKS5_PKT2_SA_S7_PKT4_S5_PKT5_S4_PT6_21rocsparse_index_base_b
	.p2align	8
	.type	_ZN9rocsparseL22bsrxmvn_general_kernelILj64ELj8EdlifddEEv20rocsparse_direction_NS_24const_host_device_scalarIT1_EET3_PKS5_PKT2_SA_S7_PKT4_S5_PKT5_S4_PT6_21rocsparse_index_base_b,@function
_ZN9rocsparseL22bsrxmvn_general_kernelILj64ELj8EdlifddEEv20rocsparse_direction_NS_24const_host_device_scalarIT1_EET3_PKS5_PKT2_SA_S7_PKT4_S5_PKT5_S4_PT6_21rocsparse_index_base_b: ; @_ZN9rocsparseL22bsrxmvn_general_kernelILj64ELj8EdlifddEEv20rocsparse_direction_NS_24const_host_device_scalarIT1_EET3_PKS5_PKT2_SA_S7_PKT4_S5_PKT5_S4_PT6_21rocsparse_index_base_b
; %bb.0:
	s_clause 0x2
	s_load_b64 s[12:13], s[0:1], 0x60
	s_load_b64 s[4:5], s[0:1], 0x8
	;; [unrolled: 1-line block ×3, first 2 shown]
	s_wait_kmcnt 0x0
	s_bitcmp1_b32 s13, 0
	v_dual_mov_b32 v1, s4 :: v_dual_mov_b32 v2, s5
	s_cselect_b32 s6, -1, 0
	s_delay_alu instid0(SALU_CYCLE_1)
	s_and_b32 vcc_lo, exec_lo, s6
	s_xor_b32 s6, s6, -1
	s_cbranch_vccnz .LBB84_2
; %bb.1:
	v_dual_mov_b32 v1, s4 :: v_dual_mov_b32 v2, s5
	flat_load_b64 v[1:2], v[1:2]
.LBB84_2:
	v_dual_mov_b32 v4, s3 :: v_dual_mov_b32 v3, s2
	s_and_not1_b32 vcc_lo, exec_lo, s6
	s_cbranch_vccnz .LBB84_4
; %bb.3:
	v_dual_mov_b32 v4, s3 :: v_dual_mov_b32 v3, s2
	flat_load_b64 v[3:4], v[3:4]
.LBB84_4:
	s_wait_loadcnt_dscnt 0x0
	v_cmp_neq_f64_e32 vcc_lo, 0, v[1:2]
	v_cmp_neq_f64_e64 s2, 1.0, v[3:4]
	s_or_b32 s2, vcc_lo, s2
	s_wait_alu 0xfffe
	s_and_saveexec_b32 s3, s2
	s_cbranch_execz .LBB84_27
; %bb.5:
	s_load_b64 s[2:3], s[0:1], 0x18
	s_wait_kmcnt 0x0
	s_cmp_eq_u64 s[2:3], 0
	s_cbranch_scc1 .LBB84_7
; %bb.6:
	s_mov_b32 s4, ttmp9
	s_ashr_i32 s5, ttmp9, 31
	s_wait_alu 0xfffe
	s_lshl_b64 s[4:5], s[4:5], 2
	s_wait_alu 0xfffe
	s_add_nc_u64 s[2:3], s[2:3], s[4:5]
	s_load_b32 s2, s[2:3], 0x0
	s_wait_kmcnt 0x0
	s_sub_co_i32 s22, s2, s12
	s_branch .LBB84_8
.LBB84_7:
	s_mov_b32 s22, ttmp9
.LBB84_8:
	s_load_b32 s14, s[0:1], 0x40
	v_lshrrev_b32_e32 v5, 3, v0
	s_wait_kmcnt 0x0
	s_delay_alu instid0(VALU_DEP_1)
	v_cmp_gt_i32_e32 vcc_lo, s14, v5
	s_and_b32 exec_lo, exec_lo, vcc_lo
	s_cbranch_execz .LBB84_27
; %bb.9:
	s_clause 0x3
	s_load_b256 s[4:11], s[0:1], 0x20
	s_load_b64 s[16:17], s[0:1], 0x58
	s_load_b64 s[18:19], s[0:1], 0x48
	s_load_b32 s20, s[0:1], 0x0
	v_cmp_eq_f64_e64 s0, 0, v[3:4]
	s_ashr_i32 s23, s22, 31
	v_mbcnt_lo_u32_b32 v6, -1, 0
	s_lshl_b64 s[2:3], s[22:23], 3
	v_dual_mov_b32 v8, 0 :: v_dual_and_b32 v7, 7, v0
	s_mov_b32 s13, 0
	s_delay_alu instid0(VALU_DEP_2)
	v_xor_b32_e32 v9, 4, v6
	v_xor_b32_e32 v10, 2, v6
	v_xor_b32_e32 v11, 1, v6
	v_mul_lo_u32 v0, s14, v5
	s_mov_b32 s15, s13
	v_cmp_gt_i32_e32 vcc_lo, 32, v9
	v_mul_lo_u32 v17, s14, v7
	v_cmp_gt_u32_e64 s1, s14, v7
	s_wait_kmcnt 0x0
	s_wait_alu 0xfffe
	s_add_nc_u64 s[4:5], s[4:5], s[2:3]
	s_add_nc_u64 s[2:3], s[6:7], s[2:3]
	s_cmp_eq_u64 s[6:7], 0
	s_wait_alu 0xfffe
	s_add_nc_u64 s[6:7], s[4:5], 8
	v_cndmask_b32_e32 v9, v6, v9, vcc_lo
	s_cselect_b32 s3, s7, s3
	s_cselect_b32 s2, s6, s2
	s_load_b64 s[24:25], s[4:5], 0x0
	s_load_b64 s[26:27], s[2:3], 0x0
	v_cmp_gt_i32_e32 vcc_lo, 32, v10
	s_mul_u64 s[4:5], s[14:15], s[14:15]
	v_cmp_eq_u32_e64 s2, 7, v7
	s_cmp_lg_u32 s20, 0
	s_wait_alu 0xfffd
	v_cndmask_b32_e32 v10, v6, v10, vcc_lo
	v_cmp_gt_i32_e32 vcc_lo, 32, v11
	s_cselect_b32 s3, -1, 0
	s_wait_alu 0xfffd
	s_delay_alu instid0(VALU_DEP_2) | instskip(NEXT) | instid1(VALU_DEP_1)
	v_dual_cndmask_b32 v6, v6, v11 :: v_dual_lshlrev_b32 v19, 2, v10
	v_lshlrev_b32_e32 v20, 2, v6
	v_lshlrev_b32_e32 v18, 2, v9
	s_wait_kmcnt 0x0
	s_sub_nc_u64 s[6:7], s[24:25], s[12:13]
	v_cmp_lt_i64_e64 s15, s[24:25], s[26:27]
	s_sub_nc_u64 s[20:21], s[26:27], s[12:13]
	s_mul_i32 s26, s22, s14
	s_wait_alu 0xfffe
	s_mul_u64 s[22:23], s[6:7], s[4:5]
	s_lshl_b32 s27, s14, 3
	s_branch .LBB84_11
.LBB84_10:                              ;   in Loop: Header=BB84_11 Depth=1
	s_wait_alu 0xfffe
	s_or_b32 exec_lo, exec_lo, s24
	v_add_nc_u32_e32 v5, 8, v5
	v_add_nc_u32_e32 v0, s27, v0
	s_delay_alu instid0(VALU_DEP_2) | instskip(SKIP_1) | instid1(SALU_CYCLE_1)
	v_cmp_le_i32_e32 vcc_lo, s14, v5
	s_or_b32 s13, vcc_lo, s13
	s_and_not1_b32 exec_lo, exec_lo, s13
	s_cbranch_execz .LBB84_27
.LBB84_11:                              ; =>This Loop Header: Depth=1
                                        ;     Child Loop BB84_15 Depth 2
                                        ;       Child Loop BB84_18 Depth 3
	v_mov_b32_e32 v9, 0
	v_mov_b32_e32 v10, 0
	s_and_not1_b32 vcc_lo, exec_lo, s15
	s_wait_alu 0xfffe
	s_cbranch_vccnz .LBB84_22
; %bb.12:                               ;   in Loop: Header=BB84_11 Depth=1
	v_ashrrev_i32_e32 v6, 31, v0
	v_add_co_u32 v21, vcc_lo, s22, v0
	v_mov_b32_e32 v9, 0
	v_mov_b32_e32 v10, 0
	s_wait_alu 0xfffd
	v_add_co_ci_u32_e64 v22, null, s23, v6, vcc_lo
	v_ashrrev_i32_e32 v6, 31, v5
	s_mov_b64 s[24:25], s[6:7]
	s_branch .LBB84_15
.LBB84_13:                              ;   in Loop: Header=BB84_15 Depth=2
	s_or_b32 exec_lo, exec_lo, s29
.LBB84_14:                              ;   in Loop: Header=BB84_15 Depth=2
	s_delay_alu instid0(SALU_CYCLE_1)
	s_or_b32 exec_lo, exec_lo, s28
	s_wait_alu 0xfffe
	s_add_nc_u64 s[24:25], s[24:25], 1
	v_add_co_u32 v21, vcc_lo, v21, s4
	s_wait_alu 0xfffe
	v_cmp_ge_i64_e64 s28, s[24:25], s[20:21]
	s_wait_alu 0xfffd
	v_add_co_ci_u32_e64 v22, null, s5, v22, vcc_lo
	s_and_b32 vcc_lo, exec_lo, s28
	s_wait_alu 0xfffe
	s_cbranch_vccnz .LBB84_22
.LBB84_15:                              ;   Parent Loop BB84_11 Depth=1
                                        ; =>  This Loop Header: Depth=2
                                        ;       Child Loop BB84_18 Depth 3
	s_and_saveexec_b32 s28, s1
	s_cbranch_execz .LBB84_14
; %bb.16:                               ;   in Loop: Header=BB84_15 Depth=2
	s_wait_alu 0xfffe
	s_lshl_b64 s[30:31], s[24:25], 2
	s_wait_dscnt 0x0
	v_mad_co_u64_u32 v[11:12], null, s4, s24, v[5:6]
	s_wait_alu 0xfffe
	s_add_nc_u64 s[30:31], s[8:9], s[30:31]
	v_dual_mov_b32 v23, v17 :: v_dual_mov_b32 v14, v8
	s_load_b32 s29, s[30:31], 0x0
	s_mul_i32 s30, s5, s24
	s_mul_i32 s31, s4, s25
	v_mov_b32_e32 v13, v7
	s_wait_alu 0xfffe
	v_add3_u32 v12, s31, s30, v12
	s_wait_kmcnt 0x0
	s_sub_co_i32 s29, s29, s12
	s_delay_alu instid0(SALU_CYCLE_1)
	s_mul_i32 s30, s29, s14
	s_mov_b32 s29, 0
	s_branch .LBB84_18
.LBB84_17:                              ;   in Loop: Header=BB84_18 Depth=3
	s_delay_alu instid0(VALU_DEP_1) | instskip(SKIP_1) | instid1(VALU_DEP_2)
	v_lshlrev_b64_e32 v[15:16], 2, v[15:16]
	v_add_nc_u32_e32 v23, s27, v23
	v_add_co_u32 v15, vcc_lo, s10, v15
	s_wait_alu 0xfffd
	s_delay_alu instid0(VALU_DEP_3) | instskip(SKIP_2) | instid1(VALU_DEP_1)
	v_add_co_ci_u32_e64 v16, null, s11, v16, vcc_lo
	global_load_b32 v24, v[15:16], off
	v_add_nc_u32_e32 v15, s30, v13
	v_ashrrev_i32_e32 v16, 31, v15
	s_delay_alu instid0(VALU_DEP_1) | instskip(NEXT) | instid1(VALU_DEP_1)
	v_lshlrev_b64_e32 v[15:16], 3, v[15:16]
	v_add_co_u32 v15, vcc_lo, s18, v15
	s_wait_alu 0xfffd
	s_delay_alu instid0(VALU_DEP_2)
	v_add_co_ci_u32_e64 v16, null, s19, v16, vcc_lo
	v_add_co_u32 v13, vcc_lo, v13, 8
	s_wait_alu 0xfffd
	v_add_co_ci_u32_e64 v14, null, 0, v14, vcc_lo
	global_load_b64 v[15:16], v[15:16], off
	v_cmp_le_i32_e32 vcc_lo, s14, v13
	s_or_b32 s29, vcc_lo, s29
	s_wait_loadcnt 0x1
	v_cvt_f64_f32_e32 v[24:25], v24
	s_wait_loadcnt 0x0
	s_delay_alu instid0(VALU_DEP_1)
	v_fma_f64 v[9:10], v[24:25], v[15:16], v[9:10]
	s_and_not1_b32 exec_lo, exec_lo, s29
	s_cbranch_execz .LBB84_13
.LBB84_18:                              ;   Parent Loop BB84_11 Depth=1
                                        ;     Parent Loop BB84_15 Depth=2
                                        ; =>    This Inner Loop Header: Depth=3
	s_and_b32 vcc_lo, exec_lo, s3
	s_wait_alu 0xfffe
	s_cbranch_vccz .LBB84_20
; %bb.19:                               ;   in Loop: Header=BB84_18 Depth=3
	v_ashrrev_i32_e32 v16, 31, v23
	v_add_co_u32 v15, vcc_lo, v11, v23
	s_wait_alu 0xfffd
	s_delay_alu instid0(VALU_DEP_2)
	v_add_co_ci_u32_e64 v16, null, v12, v16, vcc_lo
	s_cbranch_execnz .LBB84_17
	s_branch .LBB84_21
.LBB84_20:                              ;   in Loop: Header=BB84_18 Depth=3
                                        ; implicit-def: $vgpr15_vgpr16
.LBB84_21:                              ;   in Loop: Header=BB84_18 Depth=3
	v_add_co_u32 v15, vcc_lo, v21, v13
	s_wait_alu 0xfffd
	v_add_co_ci_u32_e64 v16, null, v22, v14, vcc_lo
	s_branch .LBB84_17
.LBB84_22:                              ;   in Loop: Header=BB84_11 Depth=1
	s_wait_dscnt 0x1
	ds_bpermute_b32 v11, v18, v9
	s_wait_dscnt 0x1
	ds_bpermute_b32 v12, v18, v10
	s_wait_dscnt 0x0
	v_add_f64_e32 v[9:10], v[9:10], v[11:12]
	ds_bpermute_b32 v11, v19, v9
	ds_bpermute_b32 v12, v19, v10
	s_wait_dscnt 0x0
	v_add_f64_e32 v[9:10], v[9:10], v[11:12]
	ds_bpermute_b32 v11, v20, v9
	ds_bpermute_b32 v12, v20, v10
	s_and_saveexec_b32 s24, s2
	s_cbranch_execz .LBB84_10
; %bb.23:                               ;   in Loop: Header=BB84_11 Depth=1
	s_wait_dscnt 0x0
	v_add_f64_e32 v[9:10], v[9:10], v[11:12]
	v_add_nc_u32_e32 v11, s26, v5
	s_delay_alu instid0(VALU_DEP_1) | instskip(NEXT) | instid1(VALU_DEP_3)
	v_ashrrev_i32_e32 v12, 31, v11
	v_mul_f64_e32 v[9:10], v[1:2], v[9:10]
	s_and_saveexec_b32 s25, s0
	s_wait_alu 0xfffe
	s_xor_b32 s25, exec_lo, s25
	s_cbranch_execz .LBB84_25
; %bb.24:                               ;   in Loop: Header=BB84_11 Depth=1
	v_lshlrev_b64_e32 v[11:12], 3, v[11:12]
	s_delay_alu instid0(VALU_DEP_1) | instskip(SKIP_1) | instid1(VALU_DEP_2)
	v_add_co_u32 v11, vcc_lo, s16, v11
	s_wait_alu 0xfffd
	v_add_co_ci_u32_e64 v12, null, s17, v12, vcc_lo
	global_store_b64 v[11:12], v[9:10], off
                                        ; implicit-def: $vgpr11
                                        ; implicit-def: $vgpr9_vgpr10
.LBB84_25:                              ;   in Loop: Header=BB84_11 Depth=1
	s_wait_alu 0xfffe
	s_and_not1_saveexec_b32 s25, s25
	s_cbranch_execz .LBB84_10
; %bb.26:                               ;   in Loop: Header=BB84_11 Depth=1
	v_lshlrev_b64_e32 v[11:12], 3, v[11:12]
	s_delay_alu instid0(VALU_DEP_1) | instskip(SKIP_1) | instid1(VALU_DEP_2)
	v_add_co_u32 v11, vcc_lo, s16, v11
	s_wait_alu 0xfffd
	v_add_co_ci_u32_e64 v12, null, s17, v12, vcc_lo
	global_load_b64 v[13:14], v[11:12], off
	s_wait_loadcnt 0x0
	v_fma_f64 v[9:10], v[3:4], v[13:14], v[9:10]
	global_store_b64 v[11:12], v[9:10], off
	s_branch .LBB84_10
.LBB84_27:
	s_endpgm
	.section	.rodata,"a",@progbits
	.p2align	6, 0x0
	.amdhsa_kernel _ZN9rocsparseL22bsrxmvn_general_kernelILj64ELj8EdlifddEEv20rocsparse_direction_NS_24const_host_device_scalarIT1_EET3_PKS5_PKT2_SA_S7_PKT4_S5_PKT5_S4_PT6_21rocsparse_index_base_b
		.amdhsa_group_segment_fixed_size 0
		.amdhsa_private_segment_fixed_size 0
		.amdhsa_kernarg_size 104
		.amdhsa_user_sgpr_count 2
		.amdhsa_user_sgpr_dispatch_ptr 0
		.amdhsa_user_sgpr_queue_ptr 0
		.amdhsa_user_sgpr_kernarg_segment_ptr 1
		.amdhsa_user_sgpr_dispatch_id 0
		.amdhsa_user_sgpr_private_segment_size 0
		.amdhsa_wavefront_size32 1
		.amdhsa_uses_dynamic_stack 0
		.amdhsa_enable_private_segment 0
		.amdhsa_system_sgpr_workgroup_id_x 1
		.amdhsa_system_sgpr_workgroup_id_y 0
		.amdhsa_system_sgpr_workgroup_id_z 0
		.amdhsa_system_sgpr_workgroup_info 0
		.amdhsa_system_vgpr_workitem_id 0
		.amdhsa_next_free_vgpr 26
		.amdhsa_next_free_sgpr 32
		.amdhsa_reserve_vcc 1
		.amdhsa_float_round_mode_32 0
		.amdhsa_float_round_mode_16_64 0
		.amdhsa_float_denorm_mode_32 3
		.amdhsa_float_denorm_mode_16_64 3
		.amdhsa_fp16_overflow 0
		.amdhsa_workgroup_processor_mode 1
		.amdhsa_memory_ordered 1
		.amdhsa_forward_progress 1
		.amdhsa_inst_pref_size 10
		.amdhsa_round_robin_scheduling 0
		.amdhsa_exception_fp_ieee_invalid_op 0
		.amdhsa_exception_fp_denorm_src 0
		.amdhsa_exception_fp_ieee_div_zero 0
		.amdhsa_exception_fp_ieee_overflow 0
		.amdhsa_exception_fp_ieee_underflow 0
		.amdhsa_exception_fp_ieee_inexact 0
		.amdhsa_exception_int_div_zero 0
	.end_amdhsa_kernel
	.section	.text._ZN9rocsparseL22bsrxmvn_general_kernelILj64ELj8EdlifddEEv20rocsparse_direction_NS_24const_host_device_scalarIT1_EET3_PKS5_PKT2_SA_S7_PKT4_S5_PKT5_S4_PT6_21rocsparse_index_base_b,"axG",@progbits,_ZN9rocsparseL22bsrxmvn_general_kernelILj64ELj8EdlifddEEv20rocsparse_direction_NS_24const_host_device_scalarIT1_EET3_PKS5_PKT2_SA_S7_PKT4_S5_PKT5_S4_PT6_21rocsparse_index_base_b,comdat
.Lfunc_end84:
	.size	_ZN9rocsparseL22bsrxmvn_general_kernelILj64ELj8EdlifddEEv20rocsparse_direction_NS_24const_host_device_scalarIT1_EET3_PKS5_PKT2_SA_S7_PKT4_S5_PKT5_S4_PT6_21rocsparse_index_base_b, .Lfunc_end84-_ZN9rocsparseL22bsrxmvn_general_kernelILj64ELj8EdlifddEEv20rocsparse_direction_NS_24const_host_device_scalarIT1_EET3_PKS5_PKT2_SA_S7_PKT4_S5_PKT5_S4_PT6_21rocsparse_index_base_b
                                        ; -- End function
	.set _ZN9rocsparseL22bsrxmvn_general_kernelILj64ELj8EdlifddEEv20rocsparse_direction_NS_24const_host_device_scalarIT1_EET3_PKS5_PKT2_SA_S7_PKT4_S5_PKT5_S4_PT6_21rocsparse_index_base_b.num_vgpr, 26
	.set _ZN9rocsparseL22bsrxmvn_general_kernelILj64ELj8EdlifddEEv20rocsparse_direction_NS_24const_host_device_scalarIT1_EET3_PKS5_PKT2_SA_S7_PKT4_S5_PKT5_S4_PT6_21rocsparse_index_base_b.num_agpr, 0
	.set _ZN9rocsparseL22bsrxmvn_general_kernelILj64ELj8EdlifddEEv20rocsparse_direction_NS_24const_host_device_scalarIT1_EET3_PKS5_PKT2_SA_S7_PKT4_S5_PKT5_S4_PT6_21rocsparse_index_base_b.numbered_sgpr, 32
	.set _ZN9rocsparseL22bsrxmvn_general_kernelILj64ELj8EdlifddEEv20rocsparse_direction_NS_24const_host_device_scalarIT1_EET3_PKS5_PKT2_SA_S7_PKT4_S5_PKT5_S4_PT6_21rocsparse_index_base_b.num_named_barrier, 0
	.set _ZN9rocsparseL22bsrxmvn_general_kernelILj64ELj8EdlifddEEv20rocsparse_direction_NS_24const_host_device_scalarIT1_EET3_PKS5_PKT2_SA_S7_PKT4_S5_PKT5_S4_PT6_21rocsparse_index_base_b.private_seg_size, 0
	.set _ZN9rocsparseL22bsrxmvn_general_kernelILj64ELj8EdlifddEEv20rocsparse_direction_NS_24const_host_device_scalarIT1_EET3_PKS5_PKT2_SA_S7_PKT4_S5_PKT5_S4_PT6_21rocsparse_index_base_b.uses_vcc, 1
	.set _ZN9rocsparseL22bsrxmvn_general_kernelILj64ELj8EdlifddEEv20rocsparse_direction_NS_24const_host_device_scalarIT1_EET3_PKS5_PKT2_SA_S7_PKT4_S5_PKT5_S4_PT6_21rocsparse_index_base_b.uses_flat_scratch, 0
	.set _ZN9rocsparseL22bsrxmvn_general_kernelILj64ELj8EdlifddEEv20rocsparse_direction_NS_24const_host_device_scalarIT1_EET3_PKS5_PKT2_SA_S7_PKT4_S5_PKT5_S4_PT6_21rocsparse_index_base_b.has_dyn_sized_stack, 0
	.set _ZN9rocsparseL22bsrxmvn_general_kernelILj64ELj8EdlifddEEv20rocsparse_direction_NS_24const_host_device_scalarIT1_EET3_PKS5_PKT2_SA_S7_PKT4_S5_PKT5_S4_PT6_21rocsparse_index_base_b.has_recursion, 0
	.set _ZN9rocsparseL22bsrxmvn_general_kernelILj64ELj8EdlifddEEv20rocsparse_direction_NS_24const_host_device_scalarIT1_EET3_PKS5_PKT2_SA_S7_PKT4_S5_PKT5_S4_PT6_21rocsparse_index_base_b.has_indirect_call, 0
	.section	.AMDGPU.csdata,"",@progbits
; Kernel info:
; codeLenInByte = 1268
; TotalNumSgprs: 34
; NumVgprs: 26
; ScratchSize: 0
; MemoryBound: 0
; FloatMode: 240
; IeeeMode: 1
; LDSByteSize: 0 bytes/workgroup (compile time only)
; SGPRBlocks: 0
; VGPRBlocks: 3
; NumSGPRsForWavesPerEU: 34
; NumVGPRsForWavesPerEU: 26
; Occupancy: 16
; WaveLimiterHint : 1
; COMPUTE_PGM_RSRC2:SCRATCH_EN: 0
; COMPUTE_PGM_RSRC2:USER_SGPR: 2
; COMPUTE_PGM_RSRC2:TRAP_HANDLER: 0
; COMPUTE_PGM_RSRC2:TGID_X_EN: 1
; COMPUTE_PGM_RSRC2:TGID_Y_EN: 0
; COMPUTE_PGM_RSRC2:TGID_Z_EN: 0
; COMPUTE_PGM_RSRC2:TIDIG_COMP_CNT: 0
	.section	.text._ZN9rocsparseL22bsrxmvn_general_kernelILj256ELj16EdlifddEEv20rocsparse_direction_NS_24const_host_device_scalarIT1_EET3_PKS5_PKT2_SA_S7_PKT4_S5_PKT5_S4_PT6_21rocsparse_index_base_b,"axG",@progbits,_ZN9rocsparseL22bsrxmvn_general_kernelILj256ELj16EdlifddEEv20rocsparse_direction_NS_24const_host_device_scalarIT1_EET3_PKS5_PKT2_SA_S7_PKT4_S5_PKT5_S4_PT6_21rocsparse_index_base_b,comdat
	.globl	_ZN9rocsparseL22bsrxmvn_general_kernelILj256ELj16EdlifddEEv20rocsparse_direction_NS_24const_host_device_scalarIT1_EET3_PKS5_PKT2_SA_S7_PKT4_S5_PKT5_S4_PT6_21rocsparse_index_base_b ; -- Begin function _ZN9rocsparseL22bsrxmvn_general_kernelILj256ELj16EdlifddEEv20rocsparse_direction_NS_24const_host_device_scalarIT1_EET3_PKS5_PKT2_SA_S7_PKT4_S5_PKT5_S4_PT6_21rocsparse_index_base_b
	.p2align	8
	.type	_ZN9rocsparseL22bsrxmvn_general_kernelILj256ELj16EdlifddEEv20rocsparse_direction_NS_24const_host_device_scalarIT1_EET3_PKS5_PKT2_SA_S7_PKT4_S5_PKT5_S4_PT6_21rocsparse_index_base_b,@function
_ZN9rocsparseL22bsrxmvn_general_kernelILj256ELj16EdlifddEEv20rocsparse_direction_NS_24const_host_device_scalarIT1_EET3_PKS5_PKT2_SA_S7_PKT4_S5_PKT5_S4_PT6_21rocsparse_index_base_b: ; @_ZN9rocsparseL22bsrxmvn_general_kernelILj256ELj16EdlifddEEv20rocsparse_direction_NS_24const_host_device_scalarIT1_EET3_PKS5_PKT2_SA_S7_PKT4_S5_PKT5_S4_PT6_21rocsparse_index_base_b
; %bb.0:
	s_clause 0x2
	s_load_b64 s[12:13], s[0:1], 0x60
	s_load_b64 s[4:5], s[0:1], 0x8
	;; [unrolled: 1-line block ×3, first 2 shown]
	s_wait_kmcnt 0x0
	s_bitcmp1_b32 s13, 0
	v_dual_mov_b32 v1, s4 :: v_dual_mov_b32 v2, s5
	s_cselect_b32 s6, -1, 0
	s_delay_alu instid0(SALU_CYCLE_1)
	s_and_b32 vcc_lo, exec_lo, s6
	s_xor_b32 s6, s6, -1
	s_cbranch_vccnz .LBB85_2
; %bb.1:
	v_dual_mov_b32 v1, s4 :: v_dual_mov_b32 v2, s5
	flat_load_b64 v[1:2], v[1:2]
.LBB85_2:
	v_dual_mov_b32 v4, s3 :: v_dual_mov_b32 v3, s2
	s_and_not1_b32 vcc_lo, exec_lo, s6
	s_cbranch_vccnz .LBB85_4
; %bb.3:
	v_dual_mov_b32 v4, s3 :: v_dual_mov_b32 v3, s2
	flat_load_b64 v[3:4], v[3:4]
.LBB85_4:
	s_wait_loadcnt_dscnt 0x0
	v_cmp_neq_f64_e32 vcc_lo, 0, v[1:2]
	v_cmp_neq_f64_e64 s2, 1.0, v[3:4]
	s_or_b32 s2, vcc_lo, s2
	s_wait_alu 0xfffe
	s_and_saveexec_b32 s3, s2
	s_cbranch_execz .LBB85_27
; %bb.5:
	s_load_b64 s[2:3], s[0:1], 0x18
	s_wait_kmcnt 0x0
	s_cmp_eq_u64 s[2:3], 0
	s_cbranch_scc1 .LBB85_7
; %bb.6:
	s_mov_b32 s4, ttmp9
	s_ashr_i32 s5, ttmp9, 31
	s_wait_alu 0xfffe
	s_lshl_b64 s[4:5], s[4:5], 2
	s_wait_alu 0xfffe
	s_add_nc_u64 s[2:3], s[2:3], s[4:5]
	s_load_b32 s2, s[2:3], 0x0
	s_wait_kmcnt 0x0
	s_sub_co_i32 s22, s2, s12
	s_branch .LBB85_8
.LBB85_7:
	s_mov_b32 s22, ttmp9
.LBB85_8:
	s_load_b32 s14, s[0:1], 0x40
	v_lshrrev_b32_e32 v5, 4, v0
	s_wait_kmcnt 0x0
	s_delay_alu instid0(VALU_DEP_1)
	v_cmp_gt_i32_e32 vcc_lo, s14, v5
	s_and_b32 exec_lo, exec_lo, vcc_lo
	s_cbranch_execz .LBB85_27
; %bb.9:
	s_clause 0x2
	s_load_b256 s[4:11], s[0:1], 0x20
	s_load_b64 s[16:17], s[0:1], 0x58
	s_load_b64 s[18:19], s[0:1], 0x48
	v_mbcnt_lo_u32_b32 v6, -1, 0
	s_load_b32 s28, s[0:1], 0x0
	v_cmp_eq_f64_e64 s0, 0, v[3:4]
	s_ashr_i32 s23, s22, 31
	v_dual_mov_b32 v8, 0 :: v_dual_and_b32 v7, 15, v0
	v_xor_b32_e32 v9, 8, v6
	s_lshl_b64 s[2:3], s[22:23], 3
	v_xor_b32_e32 v10, 4, v6
	v_xor_b32_e32 v11, 2, v6
	;; [unrolled: 1-line block ×3, first 2 shown]
	v_cmp_gt_i32_e32 vcc_lo, 32, v9
	s_mov_b32 s13, 0
	v_mul_lo_u32 v0, s14, v5
	s_mov_b32 s15, s13
	v_mul_lo_u32 v17, s14, v7
	v_cndmask_b32_e32 v9, v6, v9, vcc_lo
	s_wait_kmcnt 0x0
	s_wait_alu 0xfffe
	s_add_nc_u64 s[4:5], s[4:5], s[2:3]
	s_add_nc_u64 s[2:3], s[6:7], s[2:3]
	s_cmp_eq_u64 s[6:7], 0
	s_wait_alu 0xfffe
	s_add_nc_u64 s[6:7], s[4:5], 8
	v_cmp_gt_i32_e32 vcc_lo, 32, v10
	s_cselect_b32 s3, s7, s3
	s_cselect_b32 s2, s6, s2
	s_load_b64 s[24:25], s[4:5], 0x0
	s_load_b64 s[26:27], s[2:3], 0x0
	s_mul_u64 s[20:21], s[14:15], s[14:15]
	v_cndmask_b32_e32 v10, v6, v10, vcc_lo
	v_cmp_gt_i32_e32 vcc_lo, 32, v11
	v_cmp_gt_u32_e64 s1, s14, v7
	v_cmp_eq_u32_e64 s2, 15, v7
	s_cmp_lg_u32 s28, 0
	v_lshlrev_b32_e32 v19, 2, v10
	s_wait_alu 0xfffd
	v_cndmask_b32_e32 v11, v6, v11, vcc_lo
	v_cmp_gt_i32_e32 vcc_lo, 32, v12
	s_cselect_b32 s3, -1, 0
	s_delay_alu instid0(VALU_DEP_2) | instskip(SKIP_3) | instid1(VALU_DEP_2)
	v_lshlrev_b32_e32 v20, 2, v11
	s_wait_alu 0xfffd
	v_cndmask_b32_e32 v6, v6, v12, vcc_lo
	v_lshlrev_b32_e32 v18, 2, v9
	v_lshlrev_b32_e32 v21, 2, v6
	s_wait_kmcnt 0x0
	v_cmp_lt_i64_e64 s15, s[24:25], s[26:27]
	s_sub_nc_u64 s[4:5], s[24:25], s[12:13]
	s_sub_nc_u64 s[6:7], s[26:27], s[12:13]
	s_mul_i32 s26, s22, s14
	s_wait_alu 0xfffe
	s_mul_u64 s[22:23], s[4:5], s[20:21]
	s_lshl_b32 s27, s14, 4
	s_branch .LBB85_11
.LBB85_10:                              ;   in Loop: Header=BB85_11 Depth=1
	s_wait_alu 0xfffe
	s_or_b32 exec_lo, exec_lo, s24
	v_add_nc_u32_e32 v5, 16, v5
	v_add_nc_u32_e32 v0, s27, v0
	s_delay_alu instid0(VALU_DEP_2) | instskip(SKIP_1) | instid1(SALU_CYCLE_1)
	v_cmp_le_i32_e32 vcc_lo, s14, v5
	s_or_b32 s13, vcc_lo, s13
	s_and_not1_b32 exec_lo, exec_lo, s13
	s_cbranch_execz .LBB85_27
.LBB85_11:                              ; =>This Loop Header: Depth=1
                                        ;     Child Loop BB85_15 Depth 2
                                        ;       Child Loop BB85_18 Depth 3
	v_mov_b32_e32 v9, 0
	v_mov_b32_e32 v10, 0
	s_and_not1_b32 vcc_lo, exec_lo, s15
	s_wait_alu 0xfffe
	s_cbranch_vccnz .LBB85_22
; %bb.12:                               ;   in Loop: Header=BB85_11 Depth=1
	v_ashrrev_i32_e32 v6, 31, v0
	v_add_co_u32 v22, vcc_lo, s22, v0
	v_mov_b32_e32 v9, 0
	v_mov_b32_e32 v10, 0
	s_wait_alu 0xfffd
	v_add_co_ci_u32_e64 v23, null, s23, v6, vcc_lo
	v_ashrrev_i32_e32 v6, 31, v5
	s_mov_b64 s[24:25], s[4:5]
	s_branch .LBB85_15
.LBB85_13:                              ;   in Loop: Header=BB85_15 Depth=2
	s_or_b32 exec_lo, exec_lo, s29
.LBB85_14:                              ;   in Loop: Header=BB85_15 Depth=2
	s_delay_alu instid0(SALU_CYCLE_1)
	s_or_b32 exec_lo, exec_lo, s28
	s_wait_alu 0xfffe
	s_add_nc_u64 s[24:25], s[24:25], 1
	v_add_co_u32 v22, vcc_lo, v22, s20
	s_wait_alu 0xfffe
	v_cmp_ge_i64_e64 s28, s[24:25], s[6:7]
	s_wait_alu 0xfffd
	v_add_co_ci_u32_e64 v23, null, s21, v23, vcc_lo
	s_and_b32 vcc_lo, exec_lo, s28
	s_wait_alu 0xfffe
	s_cbranch_vccnz .LBB85_22
.LBB85_15:                              ;   Parent Loop BB85_11 Depth=1
                                        ; =>  This Loop Header: Depth=2
                                        ;       Child Loop BB85_18 Depth 3
	s_and_saveexec_b32 s28, s1
	s_cbranch_execz .LBB85_14
; %bb.16:                               ;   in Loop: Header=BB85_15 Depth=2
	s_wait_alu 0xfffe
	s_lshl_b64 s[30:31], s[24:25], 2
	s_wait_dscnt 0x0
	v_mad_co_u64_u32 v[11:12], null, s20, s24, v[5:6]
	s_wait_alu 0xfffe
	s_add_nc_u64 s[30:31], s[8:9], s[30:31]
	v_mov_b32_e32 v14, v8
	s_load_b32 s29, s[30:31], 0x0
	s_mul_i32 s30, s21, s24
	s_mul_i32 s31, s20, s25
	v_dual_mov_b32 v24, v17 :: v_dual_mov_b32 v13, v7
	s_wait_alu 0xfffe
	v_add3_u32 v12, s31, s30, v12
	s_wait_kmcnt 0x0
	s_sub_co_i32 s29, s29, s12
	s_delay_alu instid0(SALU_CYCLE_1)
	s_mul_i32 s30, s29, s14
	s_mov_b32 s29, 0
	s_branch .LBB85_18
.LBB85_17:                              ;   in Loop: Header=BB85_18 Depth=3
	s_delay_alu instid0(VALU_DEP_1) | instskip(SKIP_1) | instid1(VALU_DEP_2)
	v_lshlrev_b64_e32 v[15:16], 2, v[15:16]
	v_add_nc_u32_e32 v24, s27, v24
	v_add_co_u32 v15, vcc_lo, s10, v15
	s_wait_alu 0xfffd
	s_delay_alu instid0(VALU_DEP_3) | instskip(SKIP_2) | instid1(VALU_DEP_1)
	v_add_co_ci_u32_e64 v16, null, s11, v16, vcc_lo
	global_load_b32 v25, v[15:16], off
	v_add_nc_u32_e32 v15, s30, v13
	v_ashrrev_i32_e32 v16, 31, v15
	s_delay_alu instid0(VALU_DEP_1) | instskip(NEXT) | instid1(VALU_DEP_1)
	v_lshlrev_b64_e32 v[15:16], 3, v[15:16]
	v_add_co_u32 v15, vcc_lo, s18, v15
	s_wait_alu 0xfffd
	s_delay_alu instid0(VALU_DEP_2)
	v_add_co_ci_u32_e64 v16, null, s19, v16, vcc_lo
	v_add_co_u32 v13, vcc_lo, v13, 16
	s_wait_alu 0xfffd
	v_add_co_ci_u32_e64 v14, null, 0, v14, vcc_lo
	global_load_b64 v[15:16], v[15:16], off
	v_cmp_le_i32_e32 vcc_lo, s14, v13
	s_or_b32 s29, vcc_lo, s29
	s_wait_loadcnt 0x1
	v_cvt_f64_f32_e32 v[25:26], v25
	s_wait_loadcnt 0x0
	s_delay_alu instid0(VALU_DEP_1)
	v_fma_f64 v[9:10], v[25:26], v[15:16], v[9:10]
	s_and_not1_b32 exec_lo, exec_lo, s29
	s_cbranch_execz .LBB85_13
.LBB85_18:                              ;   Parent Loop BB85_11 Depth=1
                                        ;     Parent Loop BB85_15 Depth=2
                                        ; =>    This Inner Loop Header: Depth=3
	s_and_b32 vcc_lo, exec_lo, s3
	s_wait_alu 0xfffe
	s_cbranch_vccz .LBB85_20
; %bb.19:                               ;   in Loop: Header=BB85_18 Depth=3
	v_ashrrev_i32_e32 v16, 31, v24
	v_add_co_u32 v15, vcc_lo, v11, v24
	s_wait_alu 0xfffd
	s_delay_alu instid0(VALU_DEP_2)
	v_add_co_ci_u32_e64 v16, null, v12, v16, vcc_lo
	s_cbranch_execnz .LBB85_17
	s_branch .LBB85_21
.LBB85_20:                              ;   in Loop: Header=BB85_18 Depth=3
                                        ; implicit-def: $vgpr15_vgpr16
.LBB85_21:                              ;   in Loop: Header=BB85_18 Depth=3
	v_add_co_u32 v15, vcc_lo, v22, v13
	s_wait_alu 0xfffd
	v_add_co_ci_u32_e64 v16, null, v23, v14, vcc_lo
	s_branch .LBB85_17
.LBB85_22:                              ;   in Loop: Header=BB85_11 Depth=1
	s_wait_dscnt 0x1
	ds_bpermute_b32 v11, v18, v9
	s_wait_dscnt 0x1
	ds_bpermute_b32 v12, v18, v10
	s_wait_dscnt 0x0
	v_add_f64_e32 v[9:10], v[9:10], v[11:12]
	ds_bpermute_b32 v11, v19, v9
	ds_bpermute_b32 v12, v19, v10
	s_wait_dscnt 0x0
	v_add_f64_e32 v[9:10], v[9:10], v[11:12]
	ds_bpermute_b32 v11, v20, v9
	;; [unrolled: 4-line block ×3, first 2 shown]
	ds_bpermute_b32 v12, v21, v10
	s_and_saveexec_b32 s24, s2
	s_cbranch_execz .LBB85_10
; %bb.23:                               ;   in Loop: Header=BB85_11 Depth=1
	s_wait_dscnt 0x0
	v_add_f64_e32 v[9:10], v[9:10], v[11:12]
	v_add_nc_u32_e32 v11, s26, v5
	s_delay_alu instid0(VALU_DEP_1) | instskip(NEXT) | instid1(VALU_DEP_3)
	v_ashrrev_i32_e32 v12, 31, v11
	v_mul_f64_e32 v[9:10], v[1:2], v[9:10]
	s_and_saveexec_b32 s25, s0
	s_wait_alu 0xfffe
	s_xor_b32 s25, exec_lo, s25
	s_cbranch_execz .LBB85_25
; %bb.24:                               ;   in Loop: Header=BB85_11 Depth=1
	v_lshlrev_b64_e32 v[11:12], 3, v[11:12]
	s_delay_alu instid0(VALU_DEP_1) | instskip(SKIP_1) | instid1(VALU_DEP_2)
	v_add_co_u32 v11, vcc_lo, s16, v11
	s_wait_alu 0xfffd
	v_add_co_ci_u32_e64 v12, null, s17, v12, vcc_lo
	global_store_b64 v[11:12], v[9:10], off
                                        ; implicit-def: $vgpr11
                                        ; implicit-def: $vgpr9_vgpr10
.LBB85_25:                              ;   in Loop: Header=BB85_11 Depth=1
	s_wait_alu 0xfffe
	s_and_not1_saveexec_b32 s25, s25
	s_cbranch_execz .LBB85_10
; %bb.26:                               ;   in Loop: Header=BB85_11 Depth=1
	v_lshlrev_b64_e32 v[11:12], 3, v[11:12]
	s_delay_alu instid0(VALU_DEP_1) | instskip(SKIP_1) | instid1(VALU_DEP_2)
	v_add_co_u32 v11, vcc_lo, s16, v11
	s_wait_alu 0xfffd
	v_add_co_ci_u32_e64 v12, null, s17, v12, vcc_lo
	global_load_b64 v[13:14], v[11:12], off
	s_wait_loadcnt 0x0
	v_fma_f64 v[9:10], v[3:4], v[13:14], v[9:10]
	global_store_b64 v[11:12], v[9:10], off
	s_branch .LBB85_10
.LBB85_27:
	s_endpgm
	.section	.rodata,"a",@progbits
	.p2align	6, 0x0
	.amdhsa_kernel _ZN9rocsparseL22bsrxmvn_general_kernelILj256ELj16EdlifddEEv20rocsparse_direction_NS_24const_host_device_scalarIT1_EET3_PKS5_PKT2_SA_S7_PKT4_S5_PKT5_S4_PT6_21rocsparse_index_base_b
		.amdhsa_group_segment_fixed_size 0
		.amdhsa_private_segment_fixed_size 0
		.amdhsa_kernarg_size 104
		.amdhsa_user_sgpr_count 2
		.amdhsa_user_sgpr_dispatch_ptr 0
		.amdhsa_user_sgpr_queue_ptr 0
		.amdhsa_user_sgpr_kernarg_segment_ptr 1
		.amdhsa_user_sgpr_dispatch_id 0
		.amdhsa_user_sgpr_private_segment_size 0
		.amdhsa_wavefront_size32 1
		.amdhsa_uses_dynamic_stack 0
		.amdhsa_enable_private_segment 0
		.amdhsa_system_sgpr_workgroup_id_x 1
		.amdhsa_system_sgpr_workgroup_id_y 0
		.amdhsa_system_sgpr_workgroup_id_z 0
		.amdhsa_system_sgpr_workgroup_info 0
		.amdhsa_system_vgpr_workitem_id 0
		.amdhsa_next_free_vgpr 27
		.amdhsa_next_free_sgpr 32
		.amdhsa_reserve_vcc 1
		.amdhsa_float_round_mode_32 0
		.amdhsa_float_round_mode_16_64 0
		.amdhsa_float_denorm_mode_32 3
		.amdhsa_float_denorm_mode_16_64 3
		.amdhsa_fp16_overflow 0
		.amdhsa_workgroup_processor_mode 1
		.amdhsa_memory_ordered 1
		.amdhsa_forward_progress 1
		.amdhsa_inst_pref_size 11
		.amdhsa_round_robin_scheduling 0
		.amdhsa_exception_fp_ieee_invalid_op 0
		.amdhsa_exception_fp_denorm_src 0
		.amdhsa_exception_fp_ieee_div_zero 0
		.amdhsa_exception_fp_ieee_overflow 0
		.amdhsa_exception_fp_ieee_underflow 0
		.amdhsa_exception_fp_ieee_inexact 0
		.amdhsa_exception_int_div_zero 0
	.end_amdhsa_kernel
	.section	.text._ZN9rocsparseL22bsrxmvn_general_kernelILj256ELj16EdlifddEEv20rocsparse_direction_NS_24const_host_device_scalarIT1_EET3_PKS5_PKT2_SA_S7_PKT4_S5_PKT5_S4_PT6_21rocsparse_index_base_b,"axG",@progbits,_ZN9rocsparseL22bsrxmvn_general_kernelILj256ELj16EdlifddEEv20rocsparse_direction_NS_24const_host_device_scalarIT1_EET3_PKS5_PKT2_SA_S7_PKT4_S5_PKT5_S4_PT6_21rocsparse_index_base_b,comdat
.Lfunc_end85:
	.size	_ZN9rocsparseL22bsrxmvn_general_kernelILj256ELj16EdlifddEEv20rocsparse_direction_NS_24const_host_device_scalarIT1_EET3_PKS5_PKT2_SA_S7_PKT4_S5_PKT5_S4_PT6_21rocsparse_index_base_b, .Lfunc_end85-_ZN9rocsparseL22bsrxmvn_general_kernelILj256ELj16EdlifddEEv20rocsparse_direction_NS_24const_host_device_scalarIT1_EET3_PKS5_PKT2_SA_S7_PKT4_S5_PKT5_S4_PT6_21rocsparse_index_base_b
                                        ; -- End function
	.set _ZN9rocsparseL22bsrxmvn_general_kernelILj256ELj16EdlifddEEv20rocsparse_direction_NS_24const_host_device_scalarIT1_EET3_PKS5_PKT2_SA_S7_PKT4_S5_PKT5_S4_PT6_21rocsparse_index_base_b.num_vgpr, 27
	.set _ZN9rocsparseL22bsrxmvn_general_kernelILj256ELj16EdlifddEEv20rocsparse_direction_NS_24const_host_device_scalarIT1_EET3_PKS5_PKT2_SA_S7_PKT4_S5_PKT5_S4_PT6_21rocsparse_index_base_b.num_agpr, 0
	.set _ZN9rocsparseL22bsrxmvn_general_kernelILj256ELj16EdlifddEEv20rocsparse_direction_NS_24const_host_device_scalarIT1_EET3_PKS5_PKT2_SA_S7_PKT4_S5_PKT5_S4_PT6_21rocsparse_index_base_b.numbered_sgpr, 32
	.set _ZN9rocsparseL22bsrxmvn_general_kernelILj256ELj16EdlifddEEv20rocsparse_direction_NS_24const_host_device_scalarIT1_EET3_PKS5_PKT2_SA_S7_PKT4_S5_PKT5_S4_PT6_21rocsparse_index_base_b.num_named_barrier, 0
	.set _ZN9rocsparseL22bsrxmvn_general_kernelILj256ELj16EdlifddEEv20rocsparse_direction_NS_24const_host_device_scalarIT1_EET3_PKS5_PKT2_SA_S7_PKT4_S5_PKT5_S4_PT6_21rocsparse_index_base_b.private_seg_size, 0
	.set _ZN9rocsparseL22bsrxmvn_general_kernelILj256ELj16EdlifddEEv20rocsparse_direction_NS_24const_host_device_scalarIT1_EET3_PKS5_PKT2_SA_S7_PKT4_S5_PKT5_S4_PT6_21rocsparse_index_base_b.uses_vcc, 1
	.set _ZN9rocsparseL22bsrxmvn_general_kernelILj256ELj16EdlifddEEv20rocsparse_direction_NS_24const_host_device_scalarIT1_EET3_PKS5_PKT2_SA_S7_PKT4_S5_PKT5_S4_PT6_21rocsparse_index_base_b.uses_flat_scratch, 0
	.set _ZN9rocsparseL22bsrxmvn_general_kernelILj256ELj16EdlifddEEv20rocsparse_direction_NS_24const_host_device_scalarIT1_EET3_PKS5_PKT2_SA_S7_PKT4_S5_PKT5_S4_PT6_21rocsparse_index_base_b.has_dyn_sized_stack, 0
	.set _ZN9rocsparseL22bsrxmvn_general_kernelILj256ELj16EdlifddEEv20rocsparse_direction_NS_24const_host_device_scalarIT1_EET3_PKS5_PKT2_SA_S7_PKT4_S5_PKT5_S4_PT6_21rocsparse_index_base_b.has_recursion, 0
	.set _ZN9rocsparseL22bsrxmvn_general_kernelILj256ELj16EdlifddEEv20rocsparse_direction_NS_24const_host_device_scalarIT1_EET3_PKS5_PKT2_SA_S7_PKT4_S5_PKT5_S4_PT6_21rocsparse_index_base_b.has_indirect_call, 0
	.section	.AMDGPU.csdata,"",@progbits
; Kernel info:
; codeLenInByte = 1304
; TotalNumSgprs: 34
; NumVgprs: 27
; ScratchSize: 0
; MemoryBound: 0
; FloatMode: 240
; IeeeMode: 1
; LDSByteSize: 0 bytes/workgroup (compile time only)
; SGPRBlocks: 0
; VGPRBlocks: 3
; NumSGPRsForWavesPerEU: 34
; NumVGPRsForWavesPerEU: 27
; Occupancy: 16
; WaveLimiterHint : 1
; COMPUTE_PGM_RSRC2:SCRATCH_EN: 0
; COMPUTE_PGM_RSRC2:USER_SGPR: 2
; COMPUTE_PGM_RSRC2:TRAP_HANDLER: 0
; COMPUTE_PGM_RSRC2:TGID_X_EN: 1
; COMPUTE_PGM_RSRC2:TGID_Y_EN: 0
; COMPUTE_PGM_RSRC2:TGID_Z_EN: 0
; COMPUTE_PGM_RSRC2:TIDIG_COMP_CNT: 0
	.section	.text._ZN9rocsparseL22bsrxmvn_general_kernelILj1024ELj32EdlifddEEv20rocsparse_direction_NS_24const_host_device_scalarIT1_EET3_PKS5_PKT2_SA_S7_PKT4_S5_PKT5_S4_PT6_21rocsparse_index_base_b,"axG",@progbits,_ZN9rocsparseL22bsrxmvn_general_kernelILj1024ELj32EdlifddEEv20rocsparse_direction_NS_24const_host_device_scalarIT1_EET3_PKS5_PKT2_SA_S7_PKT4_S5_PKT5_S4_PT6_21rocsparse_index_base_b,comdat
	.globl	_ZN9rocsparseL22bsrxmvn_general_kernelILj1024ELj32EdlifddEEv20rocsparse_direction_NS_24const_host_device_scalarIT1_EET3_PKS5_PKT2_SA_S7_PKT4_S5_PKT5_S4_PT6_21rocsparse_index_base_b ; -- Begin function _ZN9rocsparseL22bsrxmvn_general_kernelILj1024ELj32EdlifddEEv20rocsparse_direction_NS_24const_host_device_scalarIT1_EET3_PKS5_PKT2_SA_S7_PKT4_S5_PKT5_S4_PT6_21rocsparse_index_base_b
	.p2align	8
	.type	_ZN9rocsparseL22bsrxmvn_general_kernelILj1024ELj32EdlifddEEv20rocsparse_direction_NS_24const_host_device_scalarIT1_EET3_PKS5_PKT2_SA_S7_PKT4_S5_PKT5_S4_PT6_21rocsparse_index_base_b,@function
_ZN9rocsparseL22bsrxmvn_general_kernelILj1024ELj32EdlifddEEv20rocsparse_direction_NS_24const_host_device_scalarIT1_EET3_PKS5_PKT2_SA_S7_PKT4_S5_PKT5_S4_PT6_21rocsparse_index_base_b: ; @_ZN9rocsparseL22bsrxmvn_general_kernelILj1024ELj32EdlifddEEv20rocsparse_direction_NS_24const_host_device_scalarIT1_EET3_PKS5_PKT2_SA_S7_PKT4_S5_PKT5_S4_PT6_21rocsparse_index_base_b
; %bb.0:
	s_clause 0x2
	s_load_b64 s[12:13], s[0:1], 0x60
	s_load_b64 s[4:5], s[0:1], 0x8
	s_load_b64 s[2:3], s[0:1], 0x50
	s_wait_kmcnt 0x0
	s_bitcmp1_b32 s13, 0
	v_dual_mov_b32 v1, s4 :: v_dual_mov_b32 v2, s5
	s_cselect_b32 s6, -1, 0
	s_delay_alu instid0(SALU_CYCLE_1)
	s_and_b32 vcc_lo, exec_lo, s6
	s_xor_b32 s6, s6, -1
	s_cbranch_vccnz .LBB86_2
; %bb.1:
	v_dual_mov_b32 v1, s4 :: v_dual_mov_b32 v2, s5
	flat_load_b64 v[1:2], v[1:2]
.LBB86_2:
	v_dual_mov_b32 v4, s3 :: v_dual_mov_b32 v3, s2
	s_and_not1_b32 vcc_lo, exec_lo, s6
	s_cbranch_vccnz .LBB86_4
; %bb.3:
	v_dual_mov_b32 v4, s3 :: v_dual_mov_b32 v3, s2
	flat_load_b64 v[3:4], v[3:4]
.LBB86_4:
	s_wait_loadcnt_dscnt 0x0
	v_cmp_neq_f64_e32 vcc_lo, 0, v[1:2]
	v_cmp_neq_f64_e64 s2, 1.0, v[3:4]
	s_or_b32 s2, vcc_lo, s2
	s_wait_alu 0xfffe
	s_and_saveexec_b32 s3, s2
	s_cbranch_execz .LBB86_27
; %bb.5:
	s_load_b64 s[2:3], s[0:1], 0x18
	s_wait_kmcnt 0x0
	s_cmp_eq_u64 s[2:3], 0
	s_cbranch_scc1 .LBB86_7
; %bb.6:
	s_mov_b32 s4, ttmp9
	s_ashr_i32 s5, ttmp9, 31
	s_wait_alu 0xfffe
	s_lshl_b64 s[4:5], s[4:5], 2
	s_wait_alu 0xfffe
	s_add_nc_u64 s[2:3], s[2:3], s[4:5]
	s_load_b32 s2, s[2:3], 0x0
	s_wait_kmcnt 0x0
	s_sub_co_i32 s22, s2, s12
	s_branch .LBB86_8
.LBB86_7:
	s_mov_b32 s22, ttmp9
.LBB86_8:
	s_load_b32 s14, s[0:1], 0x40
	v_lshrrev_b32_e32 v5, 5, v0
	s_wait_kmcnt 0x0
	s_delay_alu instid0(VALU_DEP_1)
	v_cmp_gt_i32_e32 vcc_lo, s14, v5
	s_and_b32 exec_lo, exec_lo, vcc_lo
	s_cbranch_execz .LBB86_27
; %bb.9:
	s_clause 0x2
	s_load_b256 s[4:11], s[0:1], 0x20
	s_load_b64 s[16:17], s[0:1], 0x58
	s_load_b64 s[18:19], s[0:1], 0x48
	v_dual_mov_b32 v6, 0 :: v_dual_and_b32 v7, 31, v0
	v_mbcnt_lo_u32_b32 v0, -1, 0
	s_load_b32 s28, s[0:1], 0x0
	v_cmp_eq_f64_e64 s0, 0, v[3:4]
	s_ashr_i32 s23, s22, 31
	s_mov_b32 s13, 0
	v_xor_b32_e32 v8, 16, v0
	v_xor_b32_e32 v9, 8, v0
	s_lshl_b64 s[2:3], s[22:23], 3
	v_xor_b32_e32 v10, 4, v0
	v_xor_b32_e32 v11, 2, v0
	v_cmp_gt_i32_e32 vcc_lo, 32, v8
	v_xor_b32_e32 v12, 1, v0
	s_mov_b32 s15, s13
	v_mul_lo_u32 v21, s14, v5
	v_mul_lo_u32 v22, s14, v7
	s_wait_kmcnt 0x0
	s_wait_alu 0xfffe
	s_add_nc_u64 s[4:5], s[4:5], s[2:3]
	v_cndmask_b32_e32 v8, v0, v8, vcc_lo
	v_cmp_gt_i32_e32 vcc_lo, 32, v9
	s_add_nc_u64 s[2:3], s[6:7], s[2:3]
	s_cmp_eq_u64 s[6:7], 0
	s_wait_alu 0xfffe
	s_add_nc_u64 s[6:7], s[4:5], 8
	s_mul_u64 s[20:21], s[14:15], s[14:15]
	s_cselect_b32 s3, s7, s3
	s_cselect_b32 s2, s6, s2
	s_load_b64 s[24:25], s[4:5], 0x0
	s_load_b64 s[26:27], s[2:3], 0x0
	v_cndmask_b32_e32 v9, v0, v9, vcc_lo
	v_cmp_gt_i32_e32 vcc_lo, 32, v10
	v_cmp_gt_u32_e64 s1, s14, v7
	v_cmp_eq_u32_e64 s2, 31, v7
	s_cmp_lg_u32 s28, 0
	s_wait_alu 0xfffd
	v_dual_cndmask_b32 v10, v0, v10 :: v_dual_lshlrev_b32 v17, 2, v9
	v_cmp_gt_i32_e32 vcc_lo, 32, v11
	s_cselect_b32 s3, -1, 0
	s_wait_alu 0xfffd
	v_cndmask_b32_e32 v11, v0, v11, vcc_lo
	v_cmp_gt_i32_e32 vcc_lo, 32, v12
	s_wait_alu 0xfffd
	s_delay_alu instid0(VALU_DEP_2)
	v_dual_cndmask_b32 v12, v0, v12 :: v_dual_lshlrev_b32 v19, 2, v11
	s_wait_kmcnt 0x0
	v_cmp_lt_i64_e64 s15, s[24:25], s[26:27]
	v_lshlrev_b32_e32 v0, 2, v8
	v_lshlrev_b32_e32 v18, 2, v10
	v_mov_b32_e32 v8, v6
	v_lshlrev_b32_e32 v20, 2, v12
	s_sub_nc_u64 s[4:5], s[24:25], s[12:13]
	s_sub_nc_u64 s[6:7], s[26:27], s[12:13]
	s_mul_i32 s26, s22, s14
	s_wait_alu 0xfffe
	s_mul_u64 s[22:23], s[4:5], s[20:21]
	s_lshl_b32 s27, s14, 5
	s_branch .LBB86_11
.LBB86_10:                              ;   in Loop: Header=BB86_11 Depth=1
	s_wait_alu 0xfffe
	s_or_b32 exec_lo, exec_lo, s24
	v_add_nc_u32_e32 v5, 32, v5
	v_add_nc_u32_e32 v21, s27, v21
	s_delay_alu instid0(VALU_DEP_2) | instskip(SKIP_1) | instid1(SALU_CYCLE_1)
	v_cmp_le_i32_e32 vcc_lo, s14, v5
	s_or_b32 s13, vcc_lo, s13
	s_and_not1_b32 exec_lo, exec_lo, s13
	s_cbranch_execz .LBB86_27
.LBB86_11:                              ; =>This Loop Header: Depth=1
                                        ;     Child Loop BB86_15 Depth 2
                                        ;       Child Loop BB86_18 Depth 3
	v_mov_b32_e32 v9, 0
	v_mov_b32_e32 v10, 0
	s_and_not1_b32 vcc_lo, exec_lo, s15
	s_wait_alu 0xfffe
	s_cbranch_vccnz .LBB86_22
; %bb.12:                               ;   in Loop: Header=BB86_11 Depth=1
	s_wait_dscnt 0x1
	v_ashrrev_i32_e32 v11, 31, v21
	v_add_co_u32 v23, vcc_lo, s22, v21
	v_mov_b32_e32 v9, 0
	v_mov_b32_e32 v10, 0
	s_wait_alu 0xfffd
	v_add_co_ci_u32_e64 v24, null, s23, v11, vcc_lo
	s_mov_b64 s[24:25], s[4:5]
	s_branch .LBB86_15
.LBB86_13:                              ;   in Loop: Header=BB86_15 Depth=2
	s_or_b32 exec_lo, exec_lo, s29
.LBB86_14:                              ;   in Loop: Header=BB86_15 Depth=2
	s_delay_alu instid0(SALU_CYCLE_1)
	s_or_b32 exec_lo, exec_lo, s28
	s_wait_alu 0xfffe
	s_add_nc_u64 s[24:25], s[24:25], 1
	v_add_co_u32 v23, vcc_lo, v23, s20
	s_wait_alu 0xfffe
	v_cmp_ge_i64_e64 s28, s[24:25], s[6:7]
	s_wait_alu 0xfffd
	v_add_co_ci_u32_e64 v24, null, s21, v24, vcc_lo
	s_and_b32 vcc_lo, exec_lo, s28
	s_wait_alu 0xfffe
	s_cbranch_vccnz .LBB86_22
.LBB86_15:                              ;   Parent Loop BB86_11 Depth=1
                                        ; =>  This Loop Header: Depth=2
                                        ;       Child Loop BB86_18 Depth 3
	s_and_saveexec_b32 s28, s1
	s_cbranch_execz .LBB86_14
; %bb.16:                               ;   in Loop: Header=BB86_15 Depth=2
	s_wait_alu 0xfffe
	s_lshl_b64 s[30:31], s[24:25], 2
	s_wait_dscnt 0x0
	v_mad_co_u64_u32 v[11:12], null, s20, s24, v[5:6]
	s_wait_alu 0xfffe
	s_add_nc_u64 s[30:31], s[8:9], s[30:31]
	v_dual_mov_b32 v25, v22 :: v_dual_mov_b32 v14, v8
	s_load_b32 s29, s[30:31], 0x0
	s_mul_i32 s30, s21, s24
	s_mul_i32 s31, s20, s25
	v_mov_b32_e32 v13, v7
	s_wait_alu 0xfffe
	v_add3_u32 v12, s31, s30, v12
	s_wait_kmcnt 0x0
	s_sub_co_i32 s29, s29, s12
	s_delay_alu instid0(SALU_CYCLE_1)
	s_mul_i32 s30, s29, s14
	s_mov_b32 s29, 0
	s_branch .LBB86_18
.LBB86_17:                              ;   in Loop: Header=BB86_18 Depth=3
	s_delay_alu instid0(VALU_DEP_1) | instskip(SKIP_1) | instid1(VALU_DEP_2)
	v_lshlrev_b64_e32 v[15:16], 2, v[15:16]
	v_add_nc_u32_e32 v25, s27, v25
	v_add_co_u32 v15, vcc_lo, s10, v15
	s_wait_alu 0xfffd
	s_delay_alu instid0(VALU_DEP_3) | instskip(SKIP_2) | instid1(VALU_DEP_1)
	v_add_co_ci_u32_e64 v16, null, s11, v16, vcc_lo
	global_load_b32 v26, v[15:16], off
	v_add_nc_u32_e32 v15, s30, v13
	v_ashrrev_i32_e32 v16, 31, v15
	s_delay_alu instid0(VALU_DEP_1) | instskip(NEXT) | instid1(VALU_DEP_1)
	v_lshlrev_b64_e32 v[15:16], 3, v[15:16]
	v_add_co_u32 v15, vcc_lo, s18, v15
	s_wait_alu 0xfffd
	s_delay_alu instid0(VALU_DEP_2)
	v_add_co_ci_u32_e64 v16, null, s19, v16, vcc_lo
	v_add_co_u32 v13, vcc_lo, v13, 32
	s_wait_alu 0xfffd
	v_add_co_ci_u32_e64 v14, null, 0, v14, vcc_lo
	global_load_b64 v[15:16], v[15:16], off
	v_cmp_le_i32_e32 vcc_lo, s14, v13
	s_or_b32 s29, vcc_lo, s29
	s_wait_loadcnt 0x1
	v_cvt_f64_f32_e32 v[26:27], v26
	s_wait_loadcnt 0x0
	s_delay_alu instid0(VALU_DEP_1)
	v_fma_f64 v[9:10], v[26:27], v[15:16], v[9:10]
	s_and_not1_b32 exec_lo, exec_lo, s29
	s_cbranch_execz .LBB86_13
.LBB86_18:                              ;   Parent Loop BB86_11 Depth=1
                                        ;     Parent Loop BB86_15 Depth=2
                                        ; =>    This Inner Loop Header: Depth=3
	s_and_b32 vcc_lo, exec_lo, s3
	s_wait_alu 0xfffe
	s_cbranch_vccz .LBB86_20
; %bb.19:                               ;   in Loop: Header=BB86_18 Depth=3
	v_ashrrev_i32_e32 v16, 31, v25
	v_add_co_u32 v15, vcc_lo, v11, v25
	s_wait_alu 0xfffd
	s_delay_alu instid0(VALU_DEP_2)
	v_add_co_ci_u32_e64 v16, null, v12, v16, vcc_lo
	s_cbranch_execnz .LBB86_17
	s_branch .LBB86_21
.LBB86_20:                              ;   in Loop: Header=BB86_18 Depth=3
                                        ; implicit-def: $vgpr15_vgpr16
.LBB86_21:                              ;   in Loop: Header=BB86_18 Depth=3
	v_add_co_u32 v15, vcc_lo, v23, v13
	s_wait_alu 0xfffd
	v_add_co_ci_u32_e64 v16, null, v24, v14, vcc_lo
	s_branch .LBB86_17
.LBB86_22:                              ;   in Loop: Header=BB86_11 Depth=1
	s_wait_dscnt 0x1
	ds_bpermute_b32 v11, v0, v9
	s_wait_dscnt 0x1
	ds_bpermute_b32 v12, v0, v10
	s_wait_dscnt 0x0
	v_add_f64_e32 v[9:10], v[9:10], v[11:12]
	ds_bpermute_b32 v11, v17, v9
	ds_bpermute_b32 v12, v17, v10
	s_wait_dscnt 0x0
	v_add_f64_e32 v[9:10], v[9:10], v[11:12]
	ds_bpermute_b32 v11, v18, v9
	ds_bpermute_b32 v12, v18, v10
	s_wait_dscnt 0x0
	v_add_f64_e32 v[9:10], v[9:10], v[11:12]
	ds_bpermute_b32 v11, v19, v9
	ds_bpermute_b32 v12, v19, v10
	s_wait_dscnt 0x0
	v_add_f64_e32 v[9:10], v[9:10], v[11:12]
	ds_bpermute_b32 v11, v20, v9
	ds_bpermute_b32 v12, v20, v10
	s_and_saveexec_b32 s24, s2
	s_cbranch_execz .LBB86_10
; %bb.23:                               ;   in Loop: Header=BB86_11 Depth=1
	s_wait_dscnt 0x0
	v_add_f64_e32 v[9:10], v[9:10], v[11:12]
	v_add_nc_u32_e32 v11, s26, v5
	s_delay_alu instid0(VALU_DEP_1) | instskip(NEXT) | instid1(VALU_DEP_3)
	v_ashrrev_i32_e32 v12, 31, v11
	v_mul_f64_e32 v[9:10], v[1:2], v[9:10]
	s_and_saveexec_b32 s25, s0
	s_wait_alu 0xfffe
	s_xor_b32 s25, exec_lo, s25
	s_cbranch_execz .LBB86_25
; %bb.24:                               ;   in Loop: Header=BB86_11 Depth=1
	v_lshlrev_b64_e32 v[11:12], 3, v[11:12]
	s_delay_alu instid0(VALU_DEP_1) | instskip(SKIP_1) | instid1(VALU_DEP_2)
	v_add_co_u32 v11, vcc_lo, s16, v11
	s_wait_alu 0xfffd
	v_add_co_ci_u32_e64 v12, null, s17, v12, vcc_lo
	global_store_b64 v[11:12], v[9:10], off
                                        ; implicit-def: $vgpr11
                                        ; implicit-def: $vgpr9_vgpr10
.LBB86_25:                              ;   in Loop: Header=BB86_11 Depth=1
	s_wait_alu 0xfffe
	s_and_not1_saveexec_b32 s25, s25
	s_cbranch_execz .LBB86_10
; %bb.26:                               ;   in Loop: Header=BB86_11 Depth=1
	v_lshlrev_b64_e32 v[11:12], 3, v[11:12]
	s_delay_alu instid0(VALU_DEP_1) | instskip(SKIP_1) | instid1(VALU_DEP_2)
	v_add_co_u32 v11, vcc_lo, s16, v11
	s_wait_alu 0xfffd
	v_add_co_ci_u32_e64 v12, null, s17, v12, vcc_lo
	global_load_b64 v[13:14], v[11:12], off
	s_wait_loadcnt 0x0
	v_fma_f64 v[9:10], v[3:4], v[13:14], v[9:10]
	global_store_b64 v[11:12], v[9:10], off
	s_branch .LBB86_10
.LBB86_27:
	s_endpgm
	.section	.rodata,"a",@progbits
	.p2align	6, 0x0
	.amdhsa_kernel _ZN9rocsparseL22bsrxmvn_general_kernelILj1024ELj32EdlifddEEv20rocsparse_direction_NS_24const_host_device_scalarIT1_EET3_PKS5_PKT2_SA_S7_PKT4_S5_PKT5_S4_PT6_21rocsparse_index_base_b
		.amdhsa_group_segment_fixed_size 0
		.amdhsa_private_segment_fixed_size 0
		.amdhsa_kernarg_size 104
		.amdhsa_user_sgpr_count 2
		.amdhsa_user_sgpr_dispatch_ptr 0
		.amdhsa_user_sgpr_queue_ptr 0
		.amdhsa_user_sgpr_kernarg_segment_ptr 1
		.amdhsa_user_sgpr_dispatch_id 0
		.amdhsa_user_sgpr_private_segment_size 0
		.amdhsa_wavefront_size32 1
		.amdhsa_uses_dynamic_stack 0
		.amdhsa_enable_private_segment 0
		.amdhsa_system_sgpr_workgroup_id_x 1
		.amdhsa_system_sgpr_workgroup_id_y 0
		.amdhsa_system_sgpr_workgroup_id_z 0
		.amdhsa_system_sgpr_workgroup_info 0
		.amdhsa_system_vgpr_workitem_id 0
		.amdhsa_next_free_vgpr 28
		.amdhsa_next_free_sgpr 32
		.amdhsa_reserve_vcc 1
		.amdhsa_float_round_mode_32 0
		.amdhsa_float_round_mode_16_64 0
		.amdhsa_float_denorm_mode_32 3
		.amdhsa_float_denorm_mode_16_64 3
		.amdhsa_fp16_overflow 0
		.amdhsa_workgroup_processor_mode 1
		.amdhsa_memory_ordered 1
		.amdhsa_forward_progress 1
		.amdhsa_inst_pref_size 11
		.amdhsa_round_robin_scheduling 0
		.amdhsa_exception_fp_ieee_invalid_op 0
		.amdhsa_exception_fp_denorm_src 0
		.amdhsa_exception_fp_ieee_div_zero 0
		.amdhsa_exception_fp_ieee_overflow 0
		.amdhsa_exception_fp_ieee_underflow 0
		.amdhsa_exception_fp_ieee_inexact 0
		.amdhsa_exception_int_div_zero 0
	.end_amdhsa_kernel
	.section	.text._ZN9rocsparseL22bsrxmvn_general_kernelILj1024ELj32EdlifddEEv20rocsparse_direction_NS_24const_host_device_scalarIT1_EET3_PKS5_PKT2_SA_S7_PKT4_S5_PKT5_S4_PT6_21rocsparse_index_base_b,"axG",@progbits,_ZN9rocsparseL22bsrxmvn_general_kernelILj1024ELj32EdlifddEEv20rocsparse_direction_NS_24const_host_device_scalarIT1_EET3_PKS5_PKT2_SA_S7_PKT4_S5_PKT5_S4_PT6_21rocsparse_index_base_b,comdat
.Lfunc_end86:
	.size	_ZN9rocsparseL22bsrxmvn_general_kernelILj1024ELj32EdlifddEEv20rocsparse_direction_NS_24const_host_device_scalarIT1_EET3_PKS5_PKT2_SA_S7_PKT4_S5_PKT5_S4_PT6_21rocsparse_index_base_b, .Lfunc_end86-_ZN9rocsparseL22bsrxmvn_general_kernelILj1024ELj32EdlifddEEv20rocsparse_direction_NS_24const_host_device_scalarIT1_EET3_PKS5_PKT2_SA_S7_PKT4_S5_PKT5_S4_PT6_21rocsparse_index_base_b
                                        ; -- End function
	.set _ZN9rocsparseL22bsrxmvn_general_kernelILj1024ELj32EdlifddEEv20rocsparse_direction_NS_24const_host_device_scalarIT1_EET3_PKS5_PKT2_SA_S7_PKT4_S5_PKT5_S4_PT6_21rocsparse_index_base_b.num_vgpr, 28
	.set _ZN9rocsparseL22bsrxmvn_general_kernelILj1024ELj32EdlifddEEv20rocsparse_direction_NS_24const_host_device_scalarIT1_EET3_PKS5_PKT2_SA_S7_PKT4_S5_PKT5_S4_PT6_21rocsparse_index_base_b.num_agpr, 0
	.set _ZN9rocsparseL22bsrxmvn_general_kernelILj1024ELj32EdlifddEEv20rocsparse_direction_NS_24const_host_device_scalarIT1_EET3_PKS5_PKT2_SA_S7_PKT4_S5_PKT5_S4_PT6_21rocsparse_index_base_b.numbered_sgpr, 32
	.set _ZN9rocsparseL22bsrxmvn_general_kernelILj1024ELj32EdlifddEEv20rocsparse_direction_NS_24const_host_device_scalarIT1_EET3_PKS5_PKT2_SA_S7_PKT4_S5_PKT5_S4_PT6_21rocsparse_index_base_b.num_named_barrier, 0
	.set _ZN9rocsparseL22bsrxmvn_general_kernelILj1024ELj32EdlifddEEv20rocsparse_direction_NS_24const_host_device_scalarIT1_EET3_PKS5_PKT2_SA_S7_PKT4_S5_PKT5_S4_PT6_21rocsparse_index_base_b.private_seg_size, 0
	.set _ZN9rocsparseL22bsrxmvn_general_kernelILj1024ELj32EdlifddEEv20rocsparse_direction_NS_24const_host_device_scalarIT1_EET3_PKS5_PKT2_SA_S7_PKT4_S5_PKT5_S4_PT6_21rocsparse_index_base_b.uses_vcc, 1
	.set _ZN9rocsparseL22bsrxmvn_general_kernelILj1024ELj32EdlifddEEv20rocsparse_direction_NS_24const_host_device_scalarIT1_EET3_PKS5_PKT2_SA_S7_PKT4_S5_PKT5_S4_PT6_21rocsparse_index_base_b.uses_flat_scratch, 0
	.set _ZN9rocsparseL22bsrxmvn_general_kernelILj1024ELj32EdlifddEEv20rocsparse_direction_NS_24const_host_device_scalarIT1_EET3_PKS5_PKT2_SA_S7_PKT4_S5_PKT5_S4_PT6_21rocsparse_index_base_b.has_dyn_sized_stack, 0
	.set _ZN9rocsparseL22bsrxmvn_general_kernelILj1024ELj32EdlifddEEv20rocsparse_direction_NS_24const_host_device_scalarIT1_EET3_PKS5_PKT2_SA_S7_PKT4_S5_PKT5_S4_PT6_21rocsparse_index_base_b.has_recursion, 0
	.set _ZN9rocsparseL22bsrxmvn_general_kernelILj1024ELj32EdlifddEEv20rocsparse_direction_NS_24const_host_device_scalarIT1_EET3_PKS5_PKT2_SA_S7_PKT4_S5_PKT5_S4_PT6_21rocsparse_index_base_b.has_indirect_call, 0
	.section	.AMDGPU.csdata,"",@progbits
; Kernel info:
; codeLenInByte = 1352
; TotalNumSgprs: 34
; NumVgprs: 28
; ScratchSize: 0
; MemoryBound: 0
; FloatMode: 240
; IeeeMode: 1
; LDSByteSize: 0 bytes/workgroup (compile time only)
; SGPRBlocks: 0
; VGPRBlocks: 3
; NumSGPRsForWavesPerEU: 34
; NumVGPRsForWavesPerEU: 28
; Occupancy: 16
; WaveLimiterHint : 1
; COMPUTE_PGM_RSRC2:SCRATCH_EN: 0
; COMPUTE_PGM_RSRC2:USER_SGPR: 2
; COMPUTE_PGM_RSRC2:TRAP_HANDLER: 0
; COMPUTE_PGM_RSRC2:TGID_X_EN: 1
; COMPUTE_PGM_RSRC2:TGID_Y_EN: 0
; COMPUTE_PGM_RSRC2:TGID_Z_EN: 0
; COMPUTE_PGM_RSRC2:TIDIG_COMP_CNT: 0
	.section	.text._ZN9rocsparseL22bsrxmvn_general_kernelILj64ELj8EdllfddEEv20rocsparse_direction_NS_24const_host_device_scalarIT1_EET3_PKS5_PKT2_SA_S7_PKT4_S5_PKT5_S4_PT6_21rocsparse_index_base_b,"axG",@progbits,_ZN9rocsparseL22bsrxmvn_general_kernelILj64ELj8EdllfddEEv20rocsparse_direction_NS_24const_host_device_scalarIT1_EET3_PKS5_PKT2_SA_S7_PKT4_S5_PKT5_S4_PT6_21rocsparse_index_base_b,comdat
	.globl	_ZN9rocsparseL22bsrxmvn_general_kernelILj64ELj8EdllfddEEv20rocsparse_direction_NS_24const_host_device_scalarIT1_EET3_PKS5_PKT2_SA_S7_PKT4_S5_PKT5_S4_PT6_21rocsparse_index_base_b ; -- Begin function _ZN9rocsparseL22bsrxmvn_general_kernelILj64ELj8EdllfddEEv20rocsparse_direction_NS_24const_host_device_scalarIT1_EET3_PKS5_PKT2_SA_S7_PKT4_S5_PKT5_S4_PT6_21rocsparse_index_base_b
	.p2align	8
	.type	_ZN9rocsparseL22bsrxmvn_general_kernelILj64ELj8EdllfddEEv20rocsparse_direction_NS_24const_host_device_scalarIT1_EET3_PKS5_PKT2_SA_S7_PKT4_S5_PKT5_S4_PT6_21rocsparse_index_base_b,@function
_ZN9rocsparseL22bsrxmvn_general_kernelILj64ELj8EdllfddEEv20rocsparse_direction_NS_24const_host_device_scalarIT1_EET3_PKS5_PKT2_SA_S7_PKT4_S5_PKT5_S4_PT6_21rocsparse_index_base_b: ; @_ZN9rocsparseL22bsrxmvn_general_kernelILj64ELj8EdllfddEEv20rocsparse_direction_NS_24const_host_device_scalarIT1_EET3_PKS5_PKT2_SA_S7_PKT4_S5_PKT5_S4_PT6_21rocsparse_index_base_b
; %bb.0:
	s_clause 0x2
	s_load_b64 s[12:13], s[0:1], 0x60
	s_load_b64 s[4:5], s[0:1], 0x8
	s_load_b64 s[2:3], s[0:1], 0x50
	s_wait_kmcnt 0x0
	s_bitcmp1_b32 s13, 0
	v_dual_mov_b32 v1, s4 :: v_dual_mov_b32 v2, s5
	s_cselect_b32 s6, -1, 0
	s_delay_alu instid0(SALU_CYCLE_1)
	s_and_b32 vcc_lo, exec_lo, s6
	s_xor_b32 s6, s6, -1
	s_cbranch_vccnz .LBB87_2
; %bb.1:
	v_dual_mov_b32 v1, s4 :: v_dual_mov_b32 v2, s5
	flat_load_b64 v[1:2], v[1:2]
.LBB87_2:
	v_dual_mov_b32 v4, s3 :: v_dual_mov_b32 v3, s2
	s_and_not1_b32 vcc_lo, exec_lo, s6
	s_cbranch_vccnz .LBB87_4
; %bb.3:
	v_dual_mov_b32 v4, s3 :: v_dual_mov_b32 v3, s2
	flat_load_b64 v[3:4], v[3:4]
.LBB87_4:
	s_wait_loadcnt_dscnt 0x0
	v_cmp_neq_f64_e32 vcc_lo, 0, v[1:2]
	v_cmp_neq_f64_e64 s2, 1.0, v[3:4]
	s_or_b32 s2, vcc_lo, s2
	s_wait_alu 0xfffe
	s_and_saveexec_b32 s3, s2
	s_cbranch_execz .LBB87_26
; %bb.5:
	s_load_b64 s[4:5], s[0:1], 0x18
	s_mov_b32 s3, 0
	s_mov_b32 s2, ttmp9
	s_wait_alu 0xfffe
	s_mov_b32 s13, s3
	s_wait_kmcnt 0x0
	s_cmp_eq_u64 s[4:5], 0
	s_cbranch_scc1 .LBB87_7
; %bb.6:
	s_lshl_b64 s[2:3], s[2:3], 3
	s_wait_alu 0xfffe
	s_add_nc_u64 s[2:3], s[4:5], s[2:3]
	s_load_b64 s[2:3], s[2:3], 0x0
	s_wait_kmcnt 0x0
	s_sub_nc_u64 s[2:3], s[2:3], s[12:13]
.LBB87_7:
	s_load_b64 s[14:15], s[0:1], 0x40
	v_lshrrev_b32_e32 v5, 3, v0
	v_mov_b32_e32 v6, 0
	s_wait_kmcnt 0x0
	s_delay_alu instid0(VALU_DEP_1)
	v_cmp_gt_i64_e32 vcc_lo, s[14:15], v[5:6]
	s_and_b32 exec_lo, exec_lo, vcc_lo
	s_cbranch_execz .LBB87_26
; %bb.8:
	s_clause 0x2
	s_load_b256 s[4:11], s[0:1], 0x20
	s_load_b64 s[16:17], s[0:1], 0x48
	s_load_b64 s[18:19], s[0:1], 0x58
	s_lshl_b64 s[20:21], s[2:3], 3
	v_dual_mov_b32 v8, v6 :: v_dual_and_b32 v7, 7, v0
	v_mbcnt_lo_u32_b32 v0, -1, 0
	s_load_b32 s27, s[0:1], 0x0
	v_cmp_eq_f64_e64 s0, 0, v[3:4]
	s_mul_u64 s[24:25], s[2:3], s[14:15]
	v_cmp_gt_u64_e64 s1, s[14:15], v[7:8]
	v_xor_b32_e32 v9, 4, v0
	v_xor_b32_e32 v10, 2, v0
	;; [unrolled: 1-line block ×3, first 2 shown]
	v_cmp_eq_u32_e64 s2, 7, v7
	s_mov_b32 s26, 0
	v_cmp_gt_i32_e32 vcc_lo, 32, v9
	v_lshlrev_b32_e32 v12, 3, v7
	s_wait_kmcnt 0x0
	s_add_nc_u64 s[4:5], s[4:5], s[20:21]
	v_cndmask_b32_e32 v13, v0, v9, vcc_lo
	s_load_b64 s[22:23], s[4:5], 0x0
	v_cmp_gt_i32_e32 vcc_lo, 32, v10
	s_add_nc_u64 s[20:21], s[6:7], s[20:21]
	s_cmp_eq_u64 s[6:7], 0
	s_add_nc_u64 s[4:5], s[4:5], 8
	s_wait_alu 0xfffe
	s_cselect_b32 s5, s5, s21
	s_cselect_b32 s4, s4, s20
	s_wait_alu 0xfffd
	v_cndmask_b32_e32 v14, v0, v10, vcc_lo
	s_load_b64 s[20:21], s[4:5], 0x0
	v_cmp_gt_i32_e32 vcc_lo, 32, v11
	s_cmp_lg_u32 s27, 0
	s_delay_alu instid0(VALU_DEP_2) | instskip(SKIP_3) | instid1(VALU_DEP_1)
	v_lshlrev_b32_e32 v23, 2, v14
	s_cselect_b32 s27, -1, 0
	s_wait_alu 0xfffd
	v_dual_cndmask_b32 v11, v0, v11 :: v_dual_lshlrev_b32 v0, 2, v13
	v_lshlrev_b32_e32 v24, 2, v11
	s_wait_kmcnt 0x0
	s_sub_nc_u64 s[4:5], s[22:23], s[12:13]
	s_wait_alu 0xfffe
	v_mad_co_u64_u32 v[9:10], null, s14, s4, v[5:6]
	s_mul_i32 s3, s15, s4
	s_mul_i32 s6, s14, s5
	v_cmp_lt_i64_e64 s28, s[22:23], s[20:21]
	s_wait_alu 0xfffe
	v_add3_u32 v11, s6, s3, v10
	v_mul_lo_u32 v13, s15, v9
	v_mad_co_u64_u32 v[9:10], null, s14, v9, 0
	s_sub_nc_u64 s[6:7], s[20:21], s[12:13]
	v_mul_lo_u32 v14, s14, v11
	v_add_co_u32 v11, s3, s16, v12
	s_wait_alu 0xf1ff
	v_add_co_ci_u32_e64 v12, null, s17, 0, s3
	s_lshl_b64 s[16:17], s[24:25], 3
	s_mul_u64 s[20:21], s[14:15], s[14:15]
	s_wait_alu 0xfffe
	s_add_nc_u64 s[16:17], s[18:19], s[16:17]
	v_add3_u32 v10, v10, v14, v13
	s_lshl_b64 s[18:19], s[14:15], 3
	s_branch .LBB87_10
.LBB87_9:                               ;   in Loop: Header=BB87_10 Depth=1
	s_wait_alu 0xfffe
	s_or_b32 exec_lo, exec_lo, s3
	v_add_co_u32 v5, vcc_lo, v5, 8
	s_wait_alu 0xfffd
	v_add_co_ci_u32_e64 v6, null, 0, v6, vcc_lo
	v_add_co_u32 v9, s3, v9, s18
	s_wait_alu 0xf1ff
	v_add_co_ci_u32_e64 v10, null, s19, v10, s3
	s_delay_alu instid0(VALU_DEP_3) | instskip(SKIP_1) | instid1(SALU_CYCLE_1)
	v_cmp_le_i64_e32 vcc_lo, s[14:15], v[5:6]
	s_or_b32 s26, vcc_lo, s26
	s_and_not1_b32 exec_lo, exec_lo, s26
	s_cbranch_execz .LBB87_26
.LBB87_10:                              ; =>This Loop Header: Depth=1
                                        ;     Child Loop BB87_14 Depth 2
                                        ;       Child Loop BB87_17 Depth 3
	v_mov_b32_e32 v13, 0
	v_mov_b32_e32 v14, 0
	s_and_not1_b32 vcc_lo, exec_lo, s28
	s_wait_alu 0xfffe
	s_cbranch_vccnz .LBB87_21
; %bb.11:                               ;   in Loop: Header=BB87_10 Depth=1
	s_wait_dscnt 0x0
	v_dual_mov_b32 v13, 0 :: v_dual_mov_b32 v16, v10
	v_dual_mov_b32 v14, 0 :: v_dual_mov_b32 v15, v9
	s_mov_b64 s[22:23], s[4:5]
	s_branch .LBB87_14
.LBB87_12:                              ;   in Loop: Header=BB87_14 Depth=2
	s_or_b32 exec_lo, exec_lo, s30
.LBB87_13:                              ;   in Loop: Header=BB87_14 Depth=2
	s_delay_alu instid0(SALU_CYCLE_1)
	s_or_b32 exec_lo, exec_lo, s29
	s_wait_alu 0xfffe
	s_add_nc_u64 s[22:23], s[22:23], 1
	v_add_co_u32 v15, vcc_lo, v15, s20
	s_wait_alu 0xfffe
	v_cmp_ge_i64_e64 s3, s[22:23], s[6:7]
	s_wait_alu 0xfffd
	v_add_co_ci_u32_e64 v16, null, s21, v16, vcc_lo
	s_and_b32 vcc_lo, exec_lo, s3
	s_wait_alu 0xfffe
	s_cbranch_vccnz .LBB87_21
.LBB87_14:                              ;   Parent Loop BB87_10 Depth=1
                                        ; =>  This Loop Header: Depth=2
                                        ;       Child Loop BB87_17 Depth 3
	s_and_saveexec_b32 s29, s1
	s_cbranch_execz .LBB87_13
; %bb.15:                               ;   in Loop: Header=BB87_14 Depth=2
	s_wait_alu 0xfffe
	s_lshl_b64 s[24:25], s[22:23], 3
	v_dual_mov_b32 v20, v8 :: v_dual_mov_b32 v19, v7
	s_wait_alu 0xfffe
	s_add_nc_u64 s[24:25], s[8:9], s[24:25]
	s_mov_b32 s30, 0
	s_load_b64 s[24:25], s[24:25], 0x0
	s_wait_kmcnt 0x0
	s_sub_nc_u64 s[24:25], s[24:25], s[12:13]
	s_wait_alu 0xfffe
	v_mad_co_u64_u32 v[17:18], null, s18, s24, v[11:12]
	s_mul_i32 s3, s19, s24
	s_mul_i32 s24, s18, s25
	s_wait_alu 0xfffe
	v_add3_u32 v18, s24, s3, v18
	s_mul_u64 s[24:25], s[22:23], s[14:15]
	s_branch .LBB87_17
.LBB87_16:                              ;   in Loop: Header=BB87_17 Depth=3
	s_delay_alu instid0(VALU_DEP_1) | instskip(NEXT) | instid1(VALU_DEP_1)
	v_lshlrev_b64_e32 v[21:22], 2, v[21:22]
	v_add_co_u32 v21, vcc_lo, s10, v21
	s_wait_alu 0xfffd
	s_delay_alu instid0(VALU_DEP_2)
	v_add_co_ci_u32_e64 v22, null, s11, v22, vcc_lo
	v_add_co_u32 v19, vcc_lo, v19, 8
	s_wait_alu 0xfffd
	v_add_co_ci_u32_e64 v20, null, 0, v20, vcc_lo
	global_load_b32 v25, v[21:22], off
	global_load_b64 v[21:22], v[17:18], off
	v_add_co_u32 v17, s3, v17, 64
	v_cmp_le_i64_e32 vcc_lo, s[14:15], v[19:20]
	s_wait_alu 0xf1ff
	v_add_co_ci_u32_e64 v18, null, 0, v18, s3
	s_or_b32 s30, vcc_lo, s30
	s_wait_loadcnt 0x1
	v_cvt_f64_f32_e32 v[25:26], v25
	s_wait_loadcnt 0x0
	s_delay_alu instid0(VALU_DEP_1)
	v_fma_f64 v[13:14], v[25:26], v[21:22], v[13:14]
	s_and_not1_b32 exec_lo, exec_lo, s30
	s_cbranch_execz .LBB87_12
.LBB87_17:                              ;   Parent Loop BB87_10 Depth=1
                                        ;     Parent Loop BB87_14 Depth=2
                                        ; =>    This Inner Loop Header: Depth=3
	s_and_b32 vcc_lo, exec_lo, s27
	s_wait_alu 0xfffe
	s_cbranch_vccz .LBB87_19
; %bb.18:                               ;   in Loop: Header=BB87_17 Depth=3
	v_add_co_u32 v21, vcc_lo, v19, s24
	s_wait_alu 0xfffd
	v_add_co_ci_u32_e64 v22, null, s25, v20, vcc_lo
	s_delay_alu instid0(VALU_DEP_2) | instskip(NEXT) | instid1(VALU_DEP_2)
	v_mul_lo_u32 v25, v21, s15
	v_mul_lo_u32 v26, v22, s14
	v_mad_co_u64_u32 v[21:22], null, v21, s14, v[5:6]
	s_delay_alu instid0(VALU_DEP_1)
	v_add3_u32 v22, v26, v22, v25
	s_cbranch_execnz .LBB87_16
	s_branch .LBB87_20
.LBB87_19:                              ;   in Loop: Header=BB87_17 Depth=3
                                        ; implicit-def: $vgpr21_vgpr22
.LBB87_20:                              ;   in Loop: Header=BB87_17 Depth=3
	v_add_co_u32 v21, vcc_lo, v15, v19
	s_wait_alu 0xfffd
	v_add_co_ci_u32_e64 v22, null, v16, v20, vcc_lo
	s_branch .LBB87_16
.LBB87_21:                              ;   in Loop: Header=BB87_10 Depth=1
	s_wait_dscnt 0x1
	ds_bpermute_b32 v15, v0, v13
	s_wait_dscnt 0x1
	ds_bpermute_b32 v16, v0, v14
	s_wait_dscnt 0x0
	v_add_f64_e32 v[13:14], v[13:14], v[15:16]
	ds_bpermute_b32 v15, v23, v13
	ds_bpermute_b32 v16, v23, v14
	s_wait_dscnt 0x0
	v_add_f64_e32 v[13:14], v[13:14], v[15:16]
	ds_bpermute_b32 v15, v24, v13
	ds_bpermute_b32 v16, v24, v14
	s_and_saveexec_b32 s3, s2
	s_cbranch_execz .LBB87_9
; %bb.22:                               ;   in Loop: Header=BB87_10 Depth=1
	s_wait_dscnt 0x0
	v_add_f64_e32 v[13:14], v[13:14], v[15:16]
	v_lshlrev_b64_e32 v[15:16], 3, v[5:6]
	s_delay_alu instid0(VALU_DEP_2)
	v_mul_f64_e32 v[13:14], v[1:2], v[13:14]
	s_and_saveexec_b32 s22, s0
	s_wait_alu 0xfffe
	s_xor_b32 s22, exec_lo, s22
	s_cbranch_execz .LBB87_24
; %bb.23:                               ;   in Loop: Header=BB87_10 Depth=1
	v_add_co_u32 v15, vcc_lo, s16, v15
	s_wait_alu 0xfffd
	v_add_co_ci_u32_e64 v16, null, s17, v16, vcc_lo
	global_store_b64 v[15:16], v[13:14], off
                                        ; implicit-def: $vgpr15_vgpr16
                                        ; implicit-def: $vgpr13_vgpr14
.LBB87_24:                              ;   in Loop: Header=BB87_10 Depth=1
	s_wait_alu 0xfffe
	s_and_not1_saveexec_b32 s22, s22
	s_cbranch_execz .LBB87_9
; %bb.25:                               ;   in Loop: Header=BB87_10 Depth=1
	v_add_co_u32 v15, vcc_lo, s16, v15
	s_wait_alu 0xfffd
	v_add_co_ci_u32_e64 v16, null, s17, v16, vcc_lo
	global_load_b64 v[17:18], v[15:16], off
	s_wait_loadcnt 0x0
	v_fma_f64 v[13:14], v[3:4], v[17:18], v[13:14]
	global_store_b64 v[15:16], v[13:14], off
	s_branch .LBB87_9
.LBB87_26:
	s_endpgm
	.section	.rodata,"a",@progbits
	.p2align	6, 0x0
	.amdhsa_kernel _ZN9rocsparseL22bsrxmvn_general_kernelILj64ELj8EdllfddEEv20rocsparse_direction_NS_24const_host_device_scalarIT1_EET3_PKS5_PKT2_SA_S7_PKT4_S5_PKT5_S4_PT6_21rocsparse_index_base_b
		.amdhsa_group_segment_fixed_size 0
		.amdhsa_private_segment_fixed_size 0
		.amdhsa_kernarg_size 104
		.amdhsa_user_sgpr_count 2
		.amdhsa_user_sgpr_dispatch_ptr 0
		.amdhsa_user_sgpr_queue_ptr 0
		.amdhsa_user_sgpr_kernarg_segment_ptr 1
		.amdhsa_user_sgpr_dispatch_id 0
		.amdhsa_user_sgpr_private_segment_size 0
		.amdhsa_wavefront_size32 1
		.amdhsa_uses_dynamic_stack 0
		.amdhsa_enable_private_segment 0
		.amdhsa_system_sgpr_workgroup_id_x 1
		.amdhsa_system_sgpr_workgroup_id_y 0
		.amdhsa_system_sgpr_workgroup_id_z 0
		.amdhsa_system_sgpr_workgroup_info 0
		.amdhsa_system_vgpr_workitem_id 0
		.amdhsa_next_free_vgpr 27
		.amdhsa_next_free_sgpr 31
		.amdhsa_reserve_vcc 1
		.amdhsa_float_round_mode_32 0
		.amdhsa_float_round_mode_16_64 0
		.amdhsa_float_denorm_mode_32 3
		.amdhsa_float_denorm_mode_16_64 3
		.amdhsa_fp16_overflow 0
		.amdhsa_workgroup_processor_mode 1
		.amdhsa_memory_ordered 1
		.amdhsa_forward_progress 1
		.amdhsa_inst_pref_size 11
		.amdhsa_round_robin_scheduling 0
		.amdhsa_exception_fp_ieee_invalid_op 0
		.amdhsa_exception_fp_denorm_src 0
		.amdhsa_exception_fp_ieee_div_zero 0
		.amdhsa_exception_fp_ieee_overflow 0
		.amdhsa_exception_fp_ieee_underflow 0
		.amdhsa_exception_fp_ieee_inexact 0
		.amdhsa_exception_int_div_zero 0
	.end_amdhsa_kernel
	.section	.text._ZN9rocsparseL22bsrxmvn_general_kernelILj64ELj8EdllfddEEv20rocsparse_direction_NS_24const_host_device_scalarIT1_EET3_PKS5_PKT2_SA_S7_PKT4_S5_PKT5_S4_PT6_21rocsparse_index_base_b,"axG",@progbits,_ZN9rocsparseL22bsrxmvn_general_kernelILj64ELj8EdllfddEEv20rocsparse_direction_NS_24const_host_device_scalarIT1_EET3_PKS5_PKT2_SA_S7_PKT4_S5_PKT5_S4_PT6_21rocsparse_index_base_b,comdat
.Lfunc_end87:
	.size	_ZN9rocsparseL22bsrxmvn_general_kernelILj64ELj8EdllfddEEv20rocsparse_direction_NS_24const_host_device_scalarIT1_EET3_PKS5_PKT2_SA_S7_PKT4_S5_PKT5_S4_PT6_21rocsparse_index_base_b, .Lfunc_end87-_ZN9rocsparseL22bsrxmvn_general_kernelILj64ELj8EdllfddEEv20rocsparse_direction_NS_24const_host_device_scalarIT1_EET3_PKS5_PKT2_SA_S7_PKT4_S5_PKT5_S4_PT6_21rocsparse_index_base_b
                                        ; -- End function
	.set _ZN9rocsparseL22bsrxmvn_general_kernelILj64ELj8EdllfddEEv20rocsparse_direction_NS_24const_host_device_scalarIT1_EET3_PKS5_PKT2_SA_S7_PKT4_S5_PKT5_S4_PT6_21rocsparse_index_base_b.num_vgpr, 27
	.set _ZN9rocsparseL22bsrxmvn_general_kernelILj64ELj8EdllfddEEv20rocsparse_direction_NS_24const_host_device_scalarIT1_EET3_PKS5_PKT2_SA_S7_PKT4_S5_PKT5_S4_PT6_21rocsparse_index_base_b.num_agpr, 0
	.set _ZN9rocsparseL22bsrxmvn_general_kernelILj64ELj8EdllfddEEv20rocsparse_direction_NS_24const_host_device_scalarIT1_EET3_PKS5_PKT2_SA_S7_PKT4_S5_PKT5_S4_PT6_21rocsparse_index_base_b.numbered_sgpr, 31
	.set _ZN9rocsparseL22bsrxmvn_general_kernelILj64ELj8EdllfddEEv20rocsparse_direction_NS_24const_host_device_scalarIT1_EET3_PKS5_PKT2_SA_S7_PKT4_S5_PKT5_S4_PT6_21rocsparse_index_base_b.num_named_barrier, 0
	.set _ZN9rocsparseL22bsrxmvn_general_kernelILj64ELj8EdllfddEEv20rocsparse_direction_NS_24const_host_device_scalarIT1_EET3_PKS5_PKT2_SA_S7_PKT4_S5_PKT5_S4_PT6_21rocsparse_index_base_b.private_seg_size, 0
	.set _ZN9rocsparseL22bsrxmvn_general_kernelILj64ELj8EdllfddEEv20rocsparse_direction_NS_24const_host_device_scalarIT1_EET3_PKS5_PKT2_SA_S7_PKT4_S5_PKT5_S4_PT6_21rocsparse_index_base_b.uses_vcc, 1
	.set _ZN9rocsparseL22bsrxmvn_general_kernelILj64ELj8EdllfddEEv20rocsparse_direction_NS_24const_host_device_scalarIT1_EET3_PKS5_PKT2_SA_S7_PKT4_S5_PKT5_S4_PT6_21rocsparse_index_base_b.uses_flat_scratch, 0
	.set _ZN9rocsparseL22bsrxmvn_general_kernelILj64ELj8EdllfddEEv20rocsparse_direction_NS_24const_host_device_scalarIT1_EET3_PKS5_PKT2_SA_S7_PKT4_S5_PKT5_S4_PT6_21rocsparse_index_base_b.has_dyn_sized_stack, 0
	.set _ZN9rocsparseL22bsrxmvn_general_kernelILj64ELj8EdllfddEEv20rocsparse_direction_NS_24const_host_device_scalarIT1_EET3_PKS5_PKT2_SA_S7_PKT4_S5_PKT5_S4_PT6_21rocsparse_index_base_b.has_recursion, 0
	.set _ZN9rocsparseL22bsrxmvn_general_kernelILj64ELj8EdllfddEEv20rocsparse_direction_NS_24const_host_device_scalarIT1_EET3_PKS5_PKT2_SA_S7_PKT4_S5_PKT5_S4_PT6_21rocsparse_index_base_b.has_indirect_call, 0
	.section	.AMDGPU.csdata,"",@progbits
; Kernel info:
; codeLenInByte = 1324
; TotalNumSgprs: 33
; NumVgprs: 27
; ScratchSize: 0
; MemoryBound: 0
; FloatMode: 240
; IeeeMode: 1
; LDSByteSize: 0 bytes/workgroup (compile time only)
; SGPRBlocks: 0
; VGPRBlocks: 3
; NumSGPRsForWavesPerEU: 33
; NumVGPRsForWavesPerEU: 27
; Occupancy: 16
; WaveLimiterHint : 1
; COMPUTE_PGM_RSRC2:SCRATCH_EN: 0
; COMPUTE_PGM_RSRC2:USER_SGPR: 2
; COMPUTE_PGM_RSRC2:TRAP_HANDLER: 0
; COMPUTE_PGM_RSRC2:TGID_X_EN: 1
; COMPUTE_PGM_RSRC2:TGID_Y_EN: 0
; COMPUTE_PGM_RSRC2:TGID_Z_EN: 0
; COMPUTE_PGM_RSRC2:TIDIG_COMP_CNT: 0
	.section	.text._ZN9rocsparseL22bsrxmvn_general_kernelILj256ELj16EdllfddEEv20rocsparse_direction_NS_24const_host_device_scalarIT1_EET3_PKS5_PKT2_SA_S7_PKT4_S5_PKT5_S4_PT6_21rocsparse_index_base_b,"axG",@progbits,_ZN9rocsparseL22bsrxmvn_general_kernelILj256ELj16EdllfddEEv20rocsparse_direction_NS_24const_host_device_scalarIT1_EET3_PKS5_PKT2_SA_S7_PKT4_S5_PKT5_S4_PT6_21rocsparse_index_base_b,comdat
	.globl	_ZN9rocsparseL22bsrxmvn_general_kernelILj256ELj16EdllfddEEv20rocsparse_direction_NS_24const_host_device_scalarIT1_EET3_PKS5_PKT2_SA_S7_PKT4_S5_PKT5_S4_PT6_21rocsparse_index_base_b ; -- Begin function _ZN9rocsparseL22bsrxmvn_general_kernelILj256ELj16EdllfddEEv20rocsparse_direction_NS_24const_host_device_scalarIT1_EET3_PKS5_PKT2_SA_S7_PKT4_S5_PKT5_S4_PT6_21rocsparse_index_base_b
	.p2align	8
	.type	_ZN9rocsparseL22bsrxmvn_general_kernelILj256ELj16EdllfddEEv20rocsparse_direction_NS_24const_host_device_scalarIT1_EET3_PKS5_PKT2_SA_S7_PKT4_S5_PKT5_S4_PT6_21rocsparse_index_base_b,@function
_ZN9rocsparseL22bsrxmvn_general_kernelILj256ELj16EdllfddEEv20rocsparse_direction_NS_24const_host_device_scalarIT1_EET3_PKS5_PKT2_SA_S7_PKT4_S5_PKT5_S4_PT6_21rocsparse_index_base_b: ; @_ZN9rocsparseL22bsrxmvn_general_kernelILj256ELj16EdllfddEEv20rocsparse_direction_NS_24const_host_device_scalarIT1_EET3_PKS5_PKT2_SA_S7_PKT4_S5_PKT5_S4_PT6_21rocsparse_index_base_b
; %bb.0:
	s_clause 0x2
	s_load_b64 s[12:13], s[0:1], 0x60
	s_load_b64 s[4:5], s[0:1], 0x8
	;; [unrolled: 1-line block ×3, first 2 shown]
	s_wait_kmcnt 0x0
	s_bitcmp1_b32 s13, 0
	v_dual_mov_b32 v1, s4 :: v_dual_mov_b32 v2, s5
	s_cselect_b32 s6, -1, 0
	s_delay_alu instid0(SALU_CYCLE_1)
	s_and_b32 vcc_lo, exec_lo, s6
	s_xor_b32 s6, s6, -1
	s_cbranch_vccnz .LBB88_2
; %bb.1:
	v_dual_mov_b32 v1, s4 :: v_dual_mov_b32 v2, s5
	flat_load_b64 v[1:2], v[1:2]
.LBB88_2:
	v_dual_mov_b32 v4, s3 :: v_dual_mov_b32 v3, s2
	s_and_not1_b32 vcc_lo, exec_lo, s6
	s_cbranch_vccnz .LBB88_4
; %bb.3:
	v_dual_mov_b32 v4, s3 :: v_dual_mov_b32 v3, s2
	flat_load_b64 v[3:4], v[3:4]
.LBB88_4:
	s_wait_loadcnt_dscnt 0x0
	v_cmp_neq_f64_e32 vcc_lo, 0, v[1:2]
	v_cmp_neq_f64_e64 s2, 1.0, v[3:4]
	s_or_b32 s2, vcc_lo, s2
	s_wait_alu 0xfffe
	s_and_saveexec_b32 s3, s2
	s_cbranch_execz .LBB88_26
; %bb.5:
	s_load_b64 s[4:5], s[0:1], 0x18
	s_mov_b32 s3, 0
	s_mov_b32 s2, ttmp9
	s_wait_alu 0xfffe
	s_mov_b32 s13, s3
	s_wait_kmcnt 0x0
	s_cmp_eq_u64 s[4:5], 0
	s_cbranch_scc1 .LBB88_7
; %bb.6:
	s_lshl_b64 s[2:3], s[2:3], 3
	s_wait_alu 0xfffe
	s_add_nc_u64 s[2:3], s[4:5], s[2:3]
	s_load_b64 s[2:3], s[2:3], 0x0
	s_wait_kmcnt 0x0
	s_sub_nc_u64 s[2:3], s[2:3], s[12:13]
.LBB88_7:
	s_load_b64 s[14:15], s[0:1], 0x40
	v_lshrrev_b32_e32 v5, 4, v0
	v_mov_b32_e32 v6, 0
	s_wait_kmcnt 0x0
	s_delay_alu instid0(VALU_DEP_1)
	v_cmp_gt_i64_e32 vcc_lo, s[14:15], v[5:6]
	s_and_b32 exec_lo, exec_lo, vcc_lo
	s_cbranch_execz .LBB88_26
; %bb.8:
	s_clause 0x2
	s_load_b256 s[4:11], s[0:1], 0x20
	s_load_b64 s[16:17], s[0:1], 0x48
	s_load_b64 s[18:19], s[0:1], 0x58
	s_lshl_b64 s[20:21], s[2:3], 3
	v_dual_mov_b32 v8, v6 :: v_dual_and_b32 v7, 15, v0
	v_mbcnt_lo_u32_b32 v0, -1, 0
	s_load_b32 s26, s[0:1], 0x0
	v_cmp_eq_f64_e64 s0, 0, v[3:4]
	s_mul_u64 s[22:23], s[2:3], s[14:15]
	v_cmp_gt_u64_e64 s1, s[14:15], v[7:8]
	v_xor_b32_e32 v9, 8, v0
	v_xor_b32_e32 v10, 4, v0
	v_xor_b32_e32 v11, 2, v0
	v_xor_b32_e32 v12, 1, v0
	v_cmp_eq_u32_e64 s2, 15, v7
	v_cmp_gt_i32_e32 vcc_lo, 32, v9
	v_lshlrev_b32_e32 v13, 3, v7
	s_mov_b32 s28, 0
	s_wait_kmcnt 0x0
	s_add_nc_u64 s[4:5], s[4:5], s[20:21]
	v_cndmask_b32_e32 v14, v0, v9, vcc_lo
	s_load_b64 s[24:25], s[4:5], 0x0
	v_cmp_gt_i32_e32 vcc_lo, 32, v10
	s_add_nc_u64 s[20:21], s[6:7], s[20:21]
	s_cmp_eq_u64 s[6:7], 0
	s_add_nc_u64 s[4:5], s[4:5], 8
	s_wait_alu 0xfffe
	s_cselect_b32 s5, s5, s21
	s_cselect_b32 s4, s4, s20
	s_wait_alu 0xfffd
	v_cndmask_b32_e32 v15, v0, v10, vcc_lo
	v_cmp_gt_i32_e32 vcc_lo, 32, v11
	s_load_b64 s[20:21], s[4:5], 0x0
	s_cmp_lg_u32 s26, 0
	s_cselect_b32 s29, -1, 0
	v_cndmask_b32_e32 v11, v0, v11, vcc_lo
	v_cmp_gt_i32_e32 vcc_lo, 32, v12
	s_wait_alu 0xfffd
	v_cndmask_b32_e32 v12, v0, v12, vcc_lo
	s_wait_kmcnt 0x0
	s_sub_nc_u64 s[4:5], s[24:25], s[12:13]
	v_lshlrev_b32_e32 v0, 2, v14
	s_wait_alu 0xfffe
	v_mad_co_u64_u32 v[9:10], null, s14, s4, v[5:6]
	s_mul_i32 s3, s15, s4
	s_mul_i32 s6, s14, s5
	v_lshlrev_b32_e32 v24, 2, v11
	v_lshlrev_b32_e32 v23, 2, v15
	;; [unrolled: 1-line block ×3, first 2 shown]
	v_cmp_lt_i64_e64 s30, s[24:25], s[20:21]
	s_wait_alu 0xfffe
	v_add3_u32 v11, s6, s3, v10
	v_mul_lo_u32 v14, s15, v9
	v_mad_co_u64_u32 v[9:10], null, s14, v9, 0
	s_lshl_b64 s[6:7], s[22:23], 3
	v_mul_lo_u32 v15, s14, v11
	v_add_co_u32 v11, s3, s16, v13
	s_wait_alu 0xf1ff
	v_add_co_ci_u32_e64 v12, null, s17, 0, s3
	s_wait_alu 0xfffe
	s_add_nc_u64 s[6:7], s[18:19], s[6:7]
	s_sub_nc_u64 s[16:17], s[20:21], s[12:13]
	s_lshl_b64 s[18:19], s[14:15], 3
	v_add3_u32 v10, v10, v15, v14
	s_lshl_b64 s[20:21], s[14:15], 4
	s_mul_u64 s[22:23], s[14:15], s[14:15]
	s_branch .LBB88_10
.LBB88_9:                               ;   in Loop: Header=BB88_10 Depth=1
	s_wait_alu 0xfffe
	s_or_b32 exec_lo, exec_lo, s3
	v_add_co_u32 v5, vcc_lo, v5, 16
	s_wait_alu 0xfffd
	v_add_co_ci_u32_e64 v6, null, 0, v6, vcc_lo
	v_add_co_u32 v9, s3, v9, s20
	s_wait_alu 0xf1ff
	v_add_co_ci_u32_e64 v10, null, s21, v10, s3
	s_delay_alu instid0(VALU_DEP_3) | instskip(SKIP_1) | instid1(SALU_CYCLE_1)
	v_cmp_le_i64_e32 vcc_lo, s[14:15], v[5:6]
	s_or_b32 s28, vcc_lo, s28
	s_and_not1_b32 exec_lo, exec_lo, s28
	s_cbranch_execz .LBB88_26
.LBB88_10:                              ; =>This Loop Header: Depth=1
                                        ;     Child Loop BB88_14 Depth 2
                                        ;       Child Loop BB88_17 Depth 3
	v_mov_b32_e32 v13, 0
	v_mov_b32_e32 v14, 0
	s_and_not1_b32 vcc_lo, exec_lo, s30
	s_wait_alu 0xfffe
	s_cbranch_vccnz .LBB88_21
; %bb.11:                               ;   in Loop: Header=BB88_10 Depth=1
	s_wait_dscnt 0x0
	v_dual_mov_b32 v13, 0 :: v_dual_mov_b32 v16, v10
	v_dual_mov_b32 v14, 0 :: v_dual_mov_b32 v15, v9
	s_mov_b64 s[24:25], s[4:5]
	s_branch .LBB88_14
.LBB88_12:                              ;   in Loop: Header=BB88_14 Depth=2
	s_or_b32 exec_lo, exec_lo, s33
.LBB88_13:                              ;   in Loop: Header=BB88_14 Depth=2
	s_delay_alu instid0(SALU_CYCLE_1)
	s_or_b32 exec_lo, exec_lo, s31
	s_wait_alu 0xfffe
	s_add_nc_u64 s[24:25], s[24:25], 1
	v_add_co_u32 v15, vcc_lo, v15, s22
	s_wait_alu 0xfffe
	v_cmp_ge_i64_e64 s3, s[24:25], s[16:17]
	s_wait_alu 0xfffd
	v_add_co_ci_u32_e64 v16, null, s23, v16, vcc_lo
	s_and_b32 vcc_lo, exec_lo, s3
	s_wait_alu 0xfffe
	s_cbranch_vccnz .LBB88_21
.LBB88_14:                              ;   Parent Loop BB88_10 Depth=1
                                        ; =>  This Loop Header: Depth=2
                                        ;       Child Loop BB88_17 Depth 3
	s_and_saveexec_b32 s31, s1
	s_cbranch_execz .LBB88_13
; %bb.15:                               ;   in Loop: Header=BB88_14 Depth=2
	s_wait_alu 0xfffe
	s_lshl_b64 s[26:27], s[24:25], 3
	v_dual_mov_b32 v20, v8 :: v_dual_mov_b32 v19, v7
	s_wait_alu 0xfffe
	s_add_nc_u64 s[26:27], s[8:9], s[26:27]
	s_mov_b32 s33, 0
	s_load_b64 s[26:27], s[26:27], 0x0
	s_wait_kmcnt 0x0
	s_sub_nc_u64 s[26:27], s[26:27], s[12:13]
	s_wait_alu 0xfffe
	v_mad_co_u64_u32 v[17:18], null, s18, s26, v[11:12]
	s_mul_i32 s3, s19, s26
	s_mul_i32 s26, s18, s27
	s_wait_alu 0xfffe
	v_add3_u32 v18, s26, s3, v18
	s_mul_u64 s[26:27], s[24:25], s[14:15]
	s_branch .LBB88_17
.LBB88_16:                              ;   in Loop: Header=BB88_17 Depth=3
	s_delay_alu instid0(VALU_DEP_1) | instskip(NEXT) | instid1(VALU_DEP_1)
	v_lshlrev_b64_e32 v[21:22], 2, v[21:22]
	v_add_co_u32 v21, vcc_lo, s10, v21
	s_wait_alu 0xfffd
	s_delay_alu instid0(VALU_DEP_2)
	v_add_co_ci_u32_e64 v22, null, s11, v22, vcc_lo
	v_add_co_u32 v19, vcc_lo, v19, 16
	s_wait_alu 0xfffd
	v_add_co_ci_u32_e64 v20, null, 0, v20, vcc_lo
	global_load_b32 v26, v[21:22], off
	global_load_b64 v[21:22], v[17:18], off
	v_add_co_u32 v17, s3, 0x80, v17
	v_cmp_le_i64_e32 vcc_lo, s[14:15], v[19:20]
	s_wait_alu 0xf1ff
	v_add_co_ci_u32_e64 v18, null, 0, v18, s3
	s_or_b32 s33, vcc_lo, s33
	s_wait_loadcnt 0x1
	v_cvt_f64_f32_e32 v[26:27], v26
	s_wait_loadcnt 0x0
	s_delay_alu instid0(VALU_DEP_1)
	v_fma_f64 v[13:14], v[26:27], v[21:22], v[13:14]
	s_and_not1_b32 exec_lo, exec_lo, s33
	s_cbranch_execz .LBB88_12
.LBB88_17:                              ;   Parent Loop BB88_10 Depth=1
                                        ;     Parent Loop BB88_14 Depth=2
                                        ; =>    This Inner Loop Header: Depth=3
	s_and_b32 vcc_lo, exec_lo, s29
	s_wait_alu 0xfffe
	s_cbranch_vccz .LBB88_19
; %bb.18:                               ;   in Loop: Header=BB88_17 Depth=3
	v_add_co_u32 v21, vcc_lo, v19, s26
	s_wait_alu 0xfffd
	v_add_co_ci_u32_e64 v22, null, s27, v20, vcc_lo
	s_delay_alu instid0(VALU_DEP_2) | instskip(NEXT) | instid1(VALU_DEP_2)
	v_mul_lo_u32 v26, v21, s15
	v_mul_lo_u32 v27, v22, s14
	v_mad_co_u64_u32 v[21:22], null, v21, s14, v[5:6]
	s_delay_alu instid0(VALU_DEP_1)
	v_add3_u32 v22, v27, v22, v26
	s_cbranch_execnz .LBB88_16
	s_branch .LBB88_20
.LBB88_19:                              ;   in Loop: Header=BB88_17 Depth=3
                                        ; implicit-def: $vgpr21_vgpr22
.LBB88_20:                              ;   in Loop: Header=BB88_17 Depth=3
	v_add_co_u32 v21, vcc_lo, v15, v19
	s_wait_alu 0xfffd
	v_add_co_ci_u32_e64 v22, null, v16, v20, vcc_lo
	s_branch .LBB88_16
.LBB88_21:                              ;   in Loop: Header=BB88_10 Depth=1
	s_wait_dscnt 0x1
	ds_bpermute_b32 v15, v0, v13
	s_wait_dscnt 0x1
	ds_bpermute_b32 v16, v0, v14
	s_wait_dscnt 0x0
	v_add_f64_e32 v[13:14], v[13:14], v[15:16]
	ds_bpermute_b32 v15, v23, v13
	ds_bpermute_b32 v16, v23, v14
	s_wait_dscnt 0x0
	v_add_f64_e32 v[13:14], v[13:14], v[15:16]
	ds_bpermute_b32 v15, v24, v13
	;; [unrolled: 4-line block ×3, first 2 shown]
	ds_bpermute_b32 v16, v25, v14
	s_and_saveexec_b32 s3, s2
	s_cbranch_execz .LBB88_9
; %bb.22:                               ;   in Loop: Header=BB88_10 Depth=1
	s_wait_dscnt 0x0
	v_add_f64_e32 v[13:14], v[13:14], v[15:16]
	v_lshlrev_b64_e32 v[15:16], 3, v[5:6]
	s_delay_alu instid0(VALU_DEP_2)
	v_mul_f64_e32 v[13:14], v[1:2], v[13:14]
	s_and_saveexec_b32 s24, s0
	s_wait_alu 0xfffe
	s_xor_b32 s24, exec_lo, s24
	s_cbranch_execz .LBB88_24
; %bb.23:                               ;   in Loop: Header=BB88_10 Depth=1
	v_add_co_u32 v15, vcc_lo, s6, v15
	s_wait_alu 0xfffd
	v_add_co_ci_u32_e64 v16, null, s7, v16, vcc_lo
	global_store_b64 v[15:16], v[13:14], off
                                        ; implicit-def: $vgpr15_vgpr16
                                        ; implicit-def: $vgpr13_vgpr14
.LBB88_24:                              ;   in Loop: Header=BB88_10 Depth=1
	s_wait_alu 0xfffe
	s_and_not1_saveexec_b32 s24, s24
	s_cbranch_execz .LBB88_9
; %bb.25:                               ;   in Loop: Header=BB88_10 Depth=1
	v_add_co_u32 v15, vcc_lo, s6, v15
	s_wait_alu 0xfffd
	v_add_co_ci_u32_e64 v16, null, s7, v16, vcc_lo
	global_load_b64 v[17:18], v[15:16], off
	s_wait_loadcnt 0x0
	v_fma_f64 v[13:14], v[3:4], v[17:18], v[13:14]
	global_store_b64 v[15:16], v[13:14], off
	s_branch .LBB88_9
.LBB88_26:
	s_endpgm
	.section	.rodata,"a",@progbits
	.p2align	6, 0x0
	.amdhsa_kernel _ZN9rocsparseL22bsrxmvn_general_kernelILj256ELj16EdllfddEEv20rocsparse_direction_NS_24const_host_device_scalarIT1_EET3_PKS5_PKT2_SA_S7_PKT4_S5_PKT5_S4_PT6_21rocsparse_index_base_b
		.amdhsa_group_segment_fixed_size 0
		.amdhsa_private_segment_fixed_size 0
		.amdhsa_kernarg_size 104
		.amdhsa_user_sgpr_count 2
		.amdhsa_user_sgpr_dispatch_ptr 0
		.amdhsa_user_sgpr_queue_ptr 0
		.amdhsa_user_sgpr_kernarg_segment_ptr 1
		.amdhsa_user_sgpr_dispatch_id 0
		.amdhsa_user_sgpr_private_segment_size 0
		.amdhsa_wavefront_size32 1
		.amdhsa_uses_dynamic_stack 0
		.amdhsa_enable_private_segment 0
		.amdhsa_system_sgpr_workgroup_id_x 1
		.amdhsa_system_sgpr_workgroup_id_y 0
		.amdhsa_system_sgpr_workgroup_id_z 0
		.amdhsa_system_sgpr_workgroup_info 0
		.amdhsa_system_vgpr_workitem_id 0
		.amdhsa_next_free_vgpr 28
		.amdhsa_next_free_sgpr 34
		.amdhsa_reserve_vcc 1
		.amdhsa_float_round_mode_32 0
		.amdhsa_float_round_mode_16_64 0
		.amdhsa_float_denorm_mode_32 3
		.amdhsa_float_denorm_mode_16_64 3
		.amdhsa_fp16_overflow 0
		.amdhsa_workgroup_processor_mode 1
		.amdhsa_memory_ordered 1
		.amdhsa_forward_progress 1
		.amdhsa_inst_pref_size 11
		.amdhsa_round_robin_scheduling 0
		.amdhsa_exception_fp_ieee_invalid_op 0
		.amdhsa_exception_fp_denorm_src 0
		.amdhsa_exception_fp_ieee_div_zero 0
		.amdhsa_exception_fp_ieee_overflow 0
		.amdhsa_exception_fp_ieee_underflow 0
		.amdhsa_exception_fp_ieee_inexact 0
		.amdhsa_exception_int_div_zero 0
	.end_amdhsa_kernel
	.section	.text._ZN9rocsparseL22bsrxmvn_general_kernelILj256ELj16EdllfddEEv20rocsparse_direction_NS_24const_host_device_scalarIT1_EET3_PKS5_PKT2_SA_S7_PKT4_S5_PKT5_S4_PT6_21rocsparse_index_base_b,"axG",@progbits,_ZN9rocsparseL22bsrxmvn_general_kernelILj256ELj16EdllfddEEv20rocsparse_direction_NS_24const_host_device_scalarIT1_EET3_PKS5_PKT2_SA_S7_PKT4_S5_PKT5_S4_PT6_21rocsparse_index_base_b,comdat
.Lfunc_end88:
	.size	_ZN9rocsparseL22bsrxmvn_general_kernelILj256ELj16EdllfddEEv20rocsparse_direction_NS_24const_host_device_scalarIT1_EET3_PKS5_PKT2_SA_S7_PKT4_S5_PKT5_S4_PT6_21rocsparse_index_base_b, .Lfunc_end88-_ZN9rocsparseL22bsrxmvn_general_kernelILj256ELj16EdllfddEEv20rocsparse_direction_NS_24const_host_device_scalarIT1_EET3_PKS5_PKT2_SA_S7_PKT4_S5_PKT5_S4_PT6_21rocsparse_index_base_b
                                        ; -- End function
	.set _ZN9rocsparseL22bsrxmvn_general_kernelILj256ELj16EdllfddEEv20rocsparse_direction_NS_24const_host_device_scalarIT1_EET3_PKS5_PKT2_SA_S7_PKT4_S5_PKT5_S4_PT6_21rocsparse_index_base_b.num_vgpr, 28
	.set _ZN9rocsparseL22bsrxmvn_general_kernelILj256ELj16EdllfddEEv20rocsparse_direction_NS_24const_host_device_scalarIT1_EET3_PKS5_PKT2_SA_S7_PKT4_S5_PKT5_S4_PT6_21rocsparse_index_base_b.num_agpr, 0
	.set _ZN9rocsparseL22bsrxmvn_general_kernelILj256ELj16EdllfddEEv20rocsparse_direction_NS_24const_host_device_scalarIT1_EET3_PKS5_PKT2_SA_S7_PKT4_S5_PKT5_S4_PT6_21rocsparse_index_base_b.numbered_sgpr, 34
	.set _ZN9rocsparseL22bsrxmvn_general_kernelILj256ELj16EdllfddEEv20rocsparse_direction_NS_24const_host_device_scalarIT1_EET3_PKS5_PKT2_SA_S7_PKT4_S5_PKT5_S4_PT6_21rocsparse_index_base_b.num_named_barrier, 0
	.set _ZN9rocsparseL22bsrxmvn_general_kernelILj256ELj16EdllfddEEv20rocsparse_direction_NS_24const_host_device_scalarIT1_EET3_PKS5_PKT2_SA_S7_PKT4_S5_PKT5_S4_PT6_21rocsparse_index_base_b.private_seg_size, 0
	.set _ZN9rocsparseL22bsrxmvn_general_kernelILj256ELj16EdllfddEEv20rocsparse_direction_NS_24const_host_device_scalarIT1_EET3_PKS5_PKT2_SA_S7_PKT4_S5_PKT5_S4_PT6_21rocsparse_index_base_b.uses_vcc, 1
	.set _ZN9rocsparseL22bsrxmvn_general_kernelILj256ELj16EdllfddEEv20rocsparse_direction_NS_24const_host_device_scalarIT1_EET3_PKS5_PKT2_SA_S7_PKT4_S5_PKT5_S4_PT6_21rocsparse_index_base_b.uses_flat_scratch, 0
	.set _ZN9rocsparseL22bsrxmvn_general_kernelILj256ELj16EdllfddEEv20rocsparse_direction_NS_24const_host_device_scalarIT1_EET3_PKS5_PKT2_SA_S7_PKT4_S5_PKT5_S4_PT6_21rocsparse_index_base_b.has_dyn_sized_stack, 0
	.set _ZN9rocsparseL22bsrxmvn_general_kernelILj256ELj16EdllfddEEv20rocsparse_direction_NS_24const_host_device_scalarIT1_EET3_PKS5_PKT2_SA_S7_PKT4_S5_PKT5_S4_PT6_21rocsparse_index_base_b.has_recursion, 0
	.set _ZN9rocsparseL22bsrxmvn_general_kernelILj256ELj16EdllfddEEv20rocsparse_direction_NS_24const_host_device_scalarIT1_EET3_PKS5_PKT2_SA_S7_PKT4_S5_PKT5_S4_PT6_21rocsparse_index_base_b.has_indirect_call, 0
	.section	.AMDGPU.csdata,"",@progbits
; Kernel info:
; codeLenInByte = 1368
; TotalNumSgprs: 36
; NumVgprs: 28
; ScratchSize: 0
; MemoryBound: 0
; FloatMode: 240
; IeeeMode: 1
; LDSByteSize: 0 bytes/workgroup (compile time only)
; SGPRBlocks: 0
; VGPRBlocks: 3
; NumSGPRsForWavesPerEU: 36
; NumVGPRsForWavesPerEU: 28
; Occupancy: 16
; WaveLimiterHint : 1
; COMPUTE_PGM_RSRC2:SCRATCH_EN: 0
; COMPUTE_PGM_RSRC2:USER_SGPR: 2
; COMPUTE_PGM_RSRC2:TRAP_HANDLER: 0
; COMPUTE_PGM_RSRC2:TGID_X_EN: 1
; COMPUTE_PGM_RSRC2:TGID_Y_EN: 0
; COMPUTE_PGM_RSRC2:TGID_Z_EN: 0
; COMPUTE_PGM_RSRC2:TIDIG_COMP_CNT: 0
	.section	.text._ZN9rocsparseL22bsrxmvn_general_kernelILj1024ELj32EdllfddEEv20rocsparse_direction_NS_24const_host_device_scalarIT1_EET3_PKS5_PKT2_SA_S7_PKT4_S5_PKT5_S4_PT6_21rocsparse_index_base_b,"axG",@progbits,_ZN9rocsparseL22bsrxmvn_general_kernelILj1024ELj32EdllfddEEv20rocsparse_direction_NS_24const_host_device_scalarIT1_EET3_PKS5_PKT2_SA_S7_PKT4_S5_PKT5_S4_PT6_21rocsparse_index_base_b,comdat
	.globl	_ZN9rocsparseL22bsrxmvn_general_kernelILj1024ELj32EdllfddEEv20rocsparse_direction_NS_24const_host_device_scalarIT1_EET3_PKS5_PKT2_SA_S7_PKT4_S5_PKT5_S4_PT6_21rocsparse_index_base_b ; -- Begin function _ZN9rocsparseL22bsrxmvn_general_kernelILj1024ELj32EdllfddEEv20rocsparse_direction_NS_24const_host_device_scalarIT1_EET3_PKS5_PKT2_SA_S7_PKT4_S5_PKT5_S4_PT6_21rocsparse_index_base_b
	.p2align	8
	.type	_ZN9rocsparseL22bsrxmvn_general_kernelILj1024ELj32EdllfddEEv20rocsparse_direction_NS_24const_host_device_scalarIT1_EET3_PKS5_PKT2_SA_S7_PKT4_S5_PKT5_S4_PT6_21rocsparse_index_base_b,@function
_ZN9rocsparseL22bsrxmvn_general_kernelILj1024ELj32EdllfddEEv20rocsparse_direction_NS_24const_host_device_scalarIT1_EET3_PKS5_PKT2_SA_S7_PKT4_S5_PKT5_S4_PT6_21rocsparse_index_base_b: ; @_ZN9rocsparseL22bsrxmvn_general_kernelILj1024ELj32EdllfddEEv20rocsparse_direction_NS_24const_host_device_scalarIT1_EET3_PKS5_PKT2_SA_S7_PKT4_S5_PKT5_S4_PT6_21rocsparse_index_base_b
; %bb.0:
	s_clause 0x2
	s_load_b64 s[12:13], s[0:1], 0x60
	s_load_b64 s[4:5], s[0:1], 0x8
	;; [unrolled: 1-line block ×3, first 2 shown]
	s_wait_kmcnt 0x0
	s_bitcmp1_b32 s13, 0
	v_dual_mov_b32 v1, s4 :: v_dual_mov_b32 v2, s5
	s_cselect_b32 s6, -1, 0
	s_delay_alu instid0(SALU_CYCLE_1)
	s_and_b32 vcc_lo, exec_lo, s6
	s_xor_b32 s6, s6, -1
	s_cbranch_vccnz .LBB89_2
; %bb.1:
	v_dual_mov_b32 v1, s4 :: v_dual_mov_b32 v2, s5
	flat_load_b64 v[1:2], v[1:2]
.LBB89_2:
	v_dual_mov_b32 v4, s3 :: v_dual_mov_b32 v3, s2
	s_and_not1_b32 vcc_lo, exec_lo, s6
	s_cbranch_vccnz .LBB89_4
; %bb.3:
	v_dual_mov_b32 v4, s3 :: v_dual_mov_b32 v3, s2
	flat_load_b64 v[3:4], v[3:4]
.LBB89_4:
	s_wait_loadcnt_dscnt 0x0
	v_cmp_neq_f64_e32 vcc_lo, 0, v[1:2]
	v_cmp_neq_f64_e64 s2, 1.0, v[3:4]
	s_or_b32 s2, vcc_lo, s2
	s_wait_alu 0xfffe
	s_and_saveexec_b32 s3, s2
	s_cbranch_execz .LBB89_26
; %bb.5:
	s_load_b64 s[4:5], s[0:1], 0x18
	s_mov_b32 s3, 0
	s_mov_b32 s2, ttmp9
	s_wait_alu 0xfffe
	s_mov_b32 s13, s3
	s_wait_kmcnt 0x0
	s_cmp_eq_u64 s[4:5], 0
	s_cbranch_scc1 .LBB89_7
; %bb.6:
	s_lshl_b64 s[2:3], s[2:3], 3
	s_wait_alu 0xfffe
	s_add_nc_u64 s[2:3], s[4:5], s[2:3]
	s_load_b64 s[2:3], s[2:3], 0x0
	s_wait_kmcnt 0x0
	s_sub_nc_u64 s[2:3], s[2:3], s[12:13]
.LBB89_7:
	s_load_b64 s[14:15], s[0:1], 0x40
	v_lshrrev_b32_e32 v5, 5, v0
	v_mov_b32_e32 v6, 0
	s_wait_kmcnt 0x0
	s_delay_alu instid0(VALU_DEP_1)
	v_cmp_gt_i64_e32 vcc_lo, s[14:15], v[5:6]
	s_and_b32 exec_lo, exec_lo, vcc_lo
	s_cbranch_execz .LBB89_26
; %bb.8:
	s_clause 0x2
	s_load_b256 s[4:11], s[0:1], 0x20
	s_load_b64 s[16:17], s[0:1], 0x48
	s_load_b64 s[18:19], s[0:1], 0x58
	v_dual_mov_b32 v8, v6 :: v_dual_and_b32 v7, 31, v0
	v_mbcnt_lo_u32_b32 v0, -1, 0
	s_lshl_b64 s[20:21], s[2:3], 3
	s_load_b32 s26, s[0:1], 0x0
	v_cmp_eq_f64_e64 s0, 0, v[3:4]
	s_mul_u64 s[22:23], s[2:3], s[14:15]
	v_xor_b32_e32 v9, 16, v0
	v_xor_b32_e32 v10, 8, v0
	;; [unrolled: 1-line block ×5, first 2 shown]
	v_cmp_gt_i32_e32 vcc_lo, 32, v9
	v_lshlrev_b32_e32 v14, 3, v7
	v_cmp_gt_u64_e64 s1, s[14:15], v[7:8]
	v_cmp_eq_u32_e64 s2, 31, v7
	s_mov_b32 s28, 0
	s_wait_kmcnt 0x0
	s_add_nc_u64 s[4:5], s[4:5], s[20:21]
	v_cndmask_b32_e32 v9, v0, v9, vcc_lo
	s_load_b64 s[24:25], s[4:5], 0x0
	v_cmp_gt_i32_e32 vcc_lo, 32, v10
	s_add_nc_u64 s[20:21], s[6:7], s[20:21]
	s_cmp_eq_u64 s[6:7], 0
	s_add_nc_u64 s[4:5], s[4:5], 8
	s_wait_alu 0xfffd
	v_cndmask_b32_e32 v15, v0, v10, vcc_lo
	v_cmp_gt_i32_e32 vcc_lo, 32, v11
	s_wait_alu 0xfffe
	s_cselect_b32 s5, s5, s21
	s_cselect_b32 s4, s4, s20
	s_cmp_lg_u32 s26, 0
	s_load_b64 s[20:21], s[4:5], 0x0
	v_cndmask_b32_e32 v11, v0, v11, vcc_lo
	v_cmp_gt_i32_e32 vcc_lo, 32, v12
	s_cselect_b32 s29, -1, 0
	s_wait_alu 0xfffd
	v_cndmask_b32_e32 v12, v0, v12, vcc_lo
	v_cmp_gt_i32_e32 vcc_lo, 32, v13
	s_wait_kmcnt 0x0
	s_sub_nc_u64 s[4:5], s[24:25], s[12:13]
	s_wait_alu 0xfffe
	s_mul_i32 s3, s15, s4
	s_mul_i32 s6, s14, s5
	s_wait_alu 0xfffd
	v_cndmask_b32_e32 v13, v0, v13, vcc_lo
	v_lshlrev_b32_e32 v0, 2, v9
	v_mad_co_u64_u32 v[9:10], null, s14, s4, v[5:6]
	v_lshlrev_b32_e32 v23, 2, v15
	s_delay_alu instid0(VALU_DEP_4)
	v_lshlrev_b32_e32 v26, 2, v13
	v_lshlrev_b32_e32 v24, 2, v11
	v_cmp_lt_i64_e64 s30, s[24:25], s[20:21]
	v_lshlrev_b32_e32 v25, 2, v12
	s_wait_alu 0xfffe
	v_add3_u32 v11, s6, s3, v10
	v_mul_lo_u32 v13, s15, v9
	v_mad_co_u64_u32 v[9:10], null, s14, v9, 0
	s_lshl_b64 s[6:7], s[22:23], 3
	v_mul_lo_u32 v15, s14, v11
	v_add_co_u32 v11, s3, s16, v14
	s_wait_alu 0xf1ff
	v_add_co_ci_u32_e64 v12, null, s17, 0, s3
	s_wait_alu 0xfffe
	s_add_nc_u64 s[6:7], s[18:19], s[6:7]
	s_sub_nc_u64 s[16:17], s[20:21], s[12:13]
	s_lshl_b64 s[18:19], s[14:15], 3
	v_add3_u32 v10, v10, v15, v13
	s_lshl_b64 s[20:21], s[14:15], 5
	s_mul_u64 s[22:23], s[14:15], s[14:15]
	s_branch .LBB89_10
.LBB89_9:                               ;   in Loop: Header=BB89_10 Depth=1
	s_wait_alu 0xfffe
	s_or_b32 exec_lo, exec_lo, s3
	v_add_co_u32 v5, vcc_lo, v5, 32
	s_wait_alu 0xfffd
	v_add_co_ci_u32_e64 v6, null, 0, v6, vcc_lo
	v_add_co_u32 v9, s3, v9, s20
	s_wait_alu 0xf1ff
	v_add_co_ci_u32_e64 v10, null, s21, v10, s3
	s_delay_alu instid0(VALU_DEP_3) | instskip(SKIP_1) | instid1(SALU_CYCLE_1)
	v_cmp_le_i64_e32 vcc_lo, s[14:15], v[5:6]
	s_or_b32 s28, vcc_lo, s28
	s_and_not1_b32 exec_lo, exec_lo, s28
	s_cbranch_execz .LBB89_26
.LBB89_10:                              ; =>This Loop Header: Depth=1
                                        ;     Child Loop BB89_14 Depth 2
                                        ;       Child Loop BB89_17 Depth 3
	v_mov_b32_e32 v13, 0
	v_mov_b32_e32 v14, 0
	s_and_not1_b32 vcc_lo, exec_lo, s30
	s_wait_alu 0xfffe
	s_cbranch_vccnz .LBB89_21
; %bb.11:                               ;   in Loop: Header=BB89_10 Depth=1
	s_wait_dscnt 0x0
	v_dual_mov_b32 v13, 0 :: v_dual_mov_b32 v16, v10
	v_dual_mov_b32 v14, 0 :: v_dual_mov_b32 v15, v9
	s_mov_b64 s[24:25], s[4:5]
	s_branch .LBB89_14
.LBB89_12:                              ;   in Loop: Header=BB89_14 Depth=2
	s_or_b32 exec_lo, exec_lo, s33
.LBB89_13:                              ;   in Loop: Header=BB89_14 Depth=2
	s_delay_alu instid0(SALU_CYCLE_1)
	s_or_b32 exec_lo, exec_lo, s31
	s_wait_alu 0xfffe
	s_add_nc_u64 s[24:25], s[24:25], 1
	v_add_co_u32 v15, vcc_lo, v15, s22
	s_wait_alu 0xfffe
	v_cmp_ge_i64_e64 s3, s[24:25], s[16:17]
	s_wait_alu 0xfffd
	v_add_co_ci_u32_e64 v16, null, s23, v16, vcc_lo
	s_and_b32 vcc_lo, exec_lo, s3
	s_wait_alu 0xfffe
	s_cbranch_vccnz .LBB89_21
.LBB89_14:                              ;   Parent Loop BB89_10 Depth=1
                                        ; =>  This Loop Header: Depth=2
                                        ;       Child Loop BB89_17 Depth 3
	s_and_saveexec_b32 s31, s1
	s_cbranch_execz .LBB89_13
; %bb.15:                               ;   in Loop: Header=BB89_14 Depth=2
	s_wait_alu 0xfffe
	s_lshl_b64 s[26:27], s[24:25], 3
	v_dual_mov_b32 v20, v8 :: v_dual_mov_b32 v19, v7
	s_wait_alu 0xfffe
	s_add_nc_u64 s[26:27], s[8:9], s[26:27]
	s_mov_b32 s33, 0
	s_load_b64 s[26:27], s[26:27], 0x0
	s_wait_kmcnt 0x0
	s_sub_nc_u64 s[26:27], s[26:27], s[12:13]
	s_wait_alu 0xfffe
	v_mad_co_u64_u32 v[17:18], null, s18, s26, v[11:12]
	s_mul_i32 s3, s19, s26
	s_mul_i32 s26, s18, s27
	s_wait_alu 0xfffe
	v_add3_u32 v18, s26, s3, v18
	s_mul_u64 s[26:27], s[24:25], s[14:15]
	s_branch .LBB89_17
.LBB89_16:                              ;   in Loop: Header=BB89_17 Depth=3
	s_delay_alu instid0(VALU_DEP_1) | instskip(NEXT) | instid1(VALU_DEP_1)
	v_lshlrev_b64_e32 v[21:22], 2, v[21:22]
	v_add_co_u32 v21, vcc_lo, s10, v21
	s_wait_alu 0xfffd
	s_delay_alu instid0(VALU_DEP_2)
	v_add_co_ci_u32_e64 v22, null, s11, v22, vcc_lo
	v_add_co_u32 v19, vcc_lo, v19, 32
	s_wait_alu 0xfffd
	v_add_co_ci_u32_e64 v20, null, 0, v20, vcc_lo
	global_load_b32 v27, v[21:22], off
	global_load_b64 v[21:22], v[17:18], off
	v_add_co_u32 v17, s3, 0x100, v17
	v_cmp_le_i64_e32 vcc_lo, s[14:15], v[19:20]
	s_wait_alu 0xf1ff
	v_add_co_ci_u32_e64 v18, null, 0, v18, s3
	s_or_b32 s33, vcc_lo, s33
	s_wait_loadcnt 0x1
	v_cvt_f64_f32_e32 v[27:28], v27
	s_wait_loadcnt 0x0
	s_delay_alu instid0(VALU_DEP_1)
	v_fma_f64 v[13:14], v[27:28], v[21:22], v[13:14]
	s_and_not1_b32 exec_lo, exec_lo, s33
	s_cbranch_execz .LBB89_12
.LBB89_17:                              ;   Parent Loop BB89_10 Depth=1
                                        ;     Parent Loop BB89_14 Depth=2
                                        ; =>    This Inner Loop Header: Depth=3
	s_and_b32 vcc_lo, exec_lo, s29
	s_wait_alu 0xfffe
	s_cbranch_vccz .LBB89_19
; %bb.18:                               ;   in Loop: Header=BB89_17 Depth=3
	v_add_co_u32 v21, vcc_lo, v19, s26
	s_wait_alu 0xfffd
	v_add_co_ci_u32_e64 v22, null, s27, v20, vcc_lo
	s_delay_alu instid0(VALU_DEP_2) | instskip(NEXT) | instid1(VALU_DEP_2)
	v_mul_lo_u32 v27, v21, s15
	v_mul_lo_u32 v28, v22, s14
	v_mad_co_u64_u32 v[21:22], null, v21, s14, v[5:6]
	s_delay_alu instid0(VALU_DEP_1)
	v_add3_u32 v22, v28, v22, v27
	s_cbranch_execnz .LBB89_16
	s_branch .LBB89_20
.LBB89_19:                              ;   in Loop: Header=BB89_17 Depth=3
                                        ; implicit-def: $vgpr21_vgpr22
.LBB89_20:                              ;   in Loop: Header=BB89_17 Depth=3
	v_add_co_u32 v21, vcc_lo, v15, v19
	s_wait_alu 0xfffd
	v_add_co_ci_u32_e64 v22, null, v16, v20, vcc_lo
	s_branch .LBB89_16
.LBB89_21:                              ;   in Loop: Header=BB89_10 Depth=1
	s_wait_dscnt 0x1
	ds_bpermute_b32 v15, v0, v13
	s_wait_dscnt 0x1
	ds_bpermute_b32 v16, v0, v14
	s_wait_dscnt 0x0
	v_add_f64_e32 v[13:14], v[13:14], v[15:16]
	ds_bpermute_b32 v15, v23, v13
	ds_bpermute_b32 v16, v23, v14
	s_wait_dscnt 0x0
	v_add_f64_e32 v[13:14], v[13:14], v[15:16]
	ds_bpermute_b32 v15, v24, v13
	;; [unrolled: 4-line block ×4, first 2 shown]
	ds_bpermute_b32 v16, v26, v14
	s_and_saveexec_b32 s3, s2
	s_cbranch_execz .LBB89_9
; %bb.22:                               ;   in Loop: Header=BB89_10 Depth=1
	s_wait_dscnt 0x0
	v_add_f64_e32 v[13:14], v[13:14], v[15:16]
	v_lshlrev_b64_e32 v[15:16], 3, v[5:6]
	s_delay_alu instid0(VALU_DEP_2)
	v_mul_f64_e32 v[13:14], v[1:2], v[13:14]
	s_and_saveexec_b32 s24, s0
	s_wait_alu 0xfffe
	s_xor_b32 s24, exec_lo, s24
	s_cbranch_execz .LBB89_24
; %bb.23:                               ;   in Loop: Header=BB89_10 Depth=1
	v_add_co_u32 v15, vcc_lo, s6, v15
	s_wait_alu 0xfffd
	v_add_co_ci_u32_e64 v16, null, s7, v16, vcc_lo
	global_store_b64 v[15:16], v[13:14], off
                                        ; implicit-def: $vgpr15_vgpr16
                                        ; implicit-def: $vgpr13_vgpr14
.LBB89_24:                              ;   in Loop: Header=BB89_10 Depth=1
	s_wait_alu 0xfffe
	s_and_not1_saveexec_b32 s24, s24
	s_cbranch_execz .LBB89_9
; %bb.25:                               ;   in Loop: Header=BB89_10 Depth=1
	v_add_co_u32 v15, vcc_lo, s6, v15
	s_wait_alu 0xfffd
	v_add_co_ci_u32_e64 v16, null, s7, v16, vcc_lo
	global_load_b64 v[17:18], v[15:16], off
	s_wait_loadcnt 0x0
	v_fma_f64 v[13:14], v[3:4], v[17:18], v[13:14]
	global_store_b64 v[15:16], v[13:14], off
	s_branch .LBB89_9
.LBB89_26:
	s_endpgm
	.section	.rodata,"a",@progbits
	.p2align	6, 0x0
	.amdhsa_kernel _ZN9rocsparseL22bsrxmvn_general_kernelILj1024ELj32EdllfddEEv20rocsparse_direction_NS_24const_host_device_scalarIT1_EET3_PKS5_PKT2_SA_S7_PKT4_S5_PKT5_S4_PT6_21rocsparse_index_base_b
		.amdhsa_group_segment_fixed_size 0
		.amdhsa_private_segment_fixed_size 0
		.amdhsa_kernarg_size 104
		.amdhsa_user_sgpr_count 2
		.amdhsa_user_sgpr_dispatch_ptr 0
		.amdhsa_user_sgpr_queue_ptr 0
		.amdhsa_user_sgpr_kernarg_segment_ptr 1
		.amdhsa_user_sgpr_dispatch_id 0
		.amdhsa_user_sgpr_private_segment_size 0
		.amdhsa_wavefront_size32 1
		.amdhsa_uses_dynamic_stack 0
		.amdhsa_enable_private_segment 0
		.amdhsa_system_sgpr_workgroup_id_x 1
		.amdhsa_system_sgpr_workgroup_id_y 0
		.amdhsa_system_sgpr_workgroup_id_z 0
		.amdhsa_system_sgpr_workgroup_info 0
		.amdhsa_system_vgpr_workitem_id 0
		.amdhsa_next_free_vgpr 29
		.amdhsa_next_free_sgpr 34
		.amdhsa_reserve_vcc 1
		.amdhsa_float_round_mode_32 0
		.amdhsa_float_round_mode_16_64 0
		.amdhsa_float_denorm_mode_32 3
		.amdhsa_float_denorm_mode_16_64 3
		.amdhsa_fp16_overflow 0
		.amdhsa_workgroup_processor_mode 1
		.amdhsa_memory_ordered 1
		.amdhsa_forward_progress 1
		.amdhsa_inst_pref_size 12
		.amdhsa_round_robin_scheduling 0
		.amdhsa_exception_fp_ieee_invalid_op 0
		.amdhsa_exception_fp_denorm_src 0
		.amdhsa_exception_fp_ieee_div_zero 0
		.amdhsa_exception_fp_ieee_overflow 0
		.amdhsa_exception_fp_ieee_underflow 0
		.amdhsa_exception_fp_ieee_inexact 0
		.amdhsa_exception_int_div_zero 0
	.end_amdhsa_kernel
	.section	.text._ZN9rocsparseL22bsrxmvn_general_kernelILj1024ELj32EdllfddEEv20rocsparse_direction_NS_24const_host_device_scalarIT1_EET3_PKS5_PKT2_SA_S7_PKT4_S5_PKT5_S4_PT6_21rocsparse_index_base_b,"axG",@progbits,_ZN9rocsparseL22bsrxmvn_general_kernelILj1024ELj32EdllfddEEv20rocsparse_direction_NS_24const_host_device_scalarIT1_EET3_PKS5_PKT2_SA_S7_PKT4_S5_PKT5_S4_PT6_21rocsparse_index_base_b,comdat
.Lfunc_end89:
	.size	_ZN9rocsparseL22bsrxmvn_general_kernelILj1024ELj32EdllfddEEv20rocsparse_direction_NS_24const_host_device_scalarIT1_EET3_PKS5_PKT2_SA_S7_PKT4_S5_PKT5_S4_PT6_21rocsparse_index_base_b, .Lfunc_end89-_ZN9rocsparseL22bsrxmvn_general_kernelILj1024ELj32EdllfddEEv20rocsparse_direction_NS_24const_host_device_scalarIT1_EET3_PKS5_PKT2_SA_S7_PKT4_S5_PKT5_S4_PT6_21rocsparse_index_base_b
                                        ; -- End function
	.set _ZN9rocsparseL22bsrxmvn_general_kernelILj1024ELj32EdllfddEEv20rocsparse_direction_NS_24const_host_device_scalarIT1_EET3_PKS5_PKT2_SA_S7_PKT4_S5_PKT5_S4_PT6_21rocsparse_index_base_b.num_vgpr, 29
	.set _ZN9rocsparseL22bsrxmvn_general_kernelILj1024ELj32EdllfddEEv20rocsparse_direction_NS_24const_host_device_scalarIT1_EET3_PKS5_PKT2_SA_S7_PKT4_S5_PKT5_S4_PT6_21rocsparse_index_base_b.num_agpr, 0
	.set _ZN9rocsparseL22bsrxmvn_general_kernelILj1024ELj32EdllfddEEv20rocsparse_direction_NS_24const_host_device_scalarIT1_EET3_PKS5_PKT2_SA_S7_PKT4_S5_PKT5_S4_PT6_21rocsparse_index_base_b.numbered_sgpr, 34
	.set _ZN9rocsparseL22bsrxmvn_general_kernelILj1024ELj32EdllfddEEv20rocsparse_direction_NS_24const_host_device_scalarIT1_EET3_PKS5_PKT2_SA_S7_PKT4_S5_PKT5_S4_PT6_21rocsparse_index_base_b.num_named_barrier, 0
	.set _ZN9rocsparseL22bsrxmvn_general_kernelILj1024ELj32EdllfddEEv20rocsparse_direction_NS_24const_host_device_scalarIT1_EET3_PKS5_PKT2_SA_S7_PKT4_S5_PKT5_S4_PT6_21rocsparse_index_base_b.private_seg_size, 0
	.set _ZN9rocsparseL22bsrxmvn_general_kernelILj1024ELj32EdllfddEEv20rocsparse_direction_NS_24const_host_device_scalarIT1_EET3_PKS5_PKT2_SA_S7_PKT4_S5_PKT5_S4_PT6_21rocsparse_index_base_b.uses_vcc, 1
	.set _ZN9rocsparseL22bsrxmvn_general_kernelILj1024ELj32EdllfddEEv20rocsparse_direction_NS_24const_host_device_scalarIT1_EET3_PKS5_PKT2_SA_S7_PKT4_S5_PKT5_S4_PT6_21rocsparse_index_base_b.uses_flat_scratch, 0
	.set _ZN9rocsparseL22bsrxmvn_general_kernelILj1024ELj32EdllfddEEv20rocsparse_direction_NS_24const_host_device_scalarIT1_EET3_PKS5_PKT2_SA_S7_PKT4_S5_PKT5_S4_PT6_21rocsparse_index_base_b.has_dyn_sized_stack, 0
	.set _ZN9rocsparseL22bsrxmvn_general_kernelILj1024ELj32EdllfddEEv20rocsparse_direction_NS_24const_host_device_scalarIT1_EET3_PKS5_PKT2_SA_S7_PKT4_S5_PKT5_S4_PT6_21rocsparse_index_base_b.has_recursion, 0
	.set _ZN9rocsparseL22bsrxmvn_general_kernelILj1024ELj32EdllfddEEv20rocsparse_direction_NS_24const_host_device_scalarIT1_EET3_PKS5_PKT2_SA_S7_PKT4_S5_PKT5_S4_PT6_21rocsparse_index_base_b.has_indirect_call, 0
	.section	.AMDGPU.csdata,"",@progbits
; Kernel info:
; codeLenInByte = 1416
; TotalNumSgprs: 36
; NumVgprs: 29
; ScratchSize: 0
; MemoryBound: 0
; FloatMode: 240
; IeeeMode: 1
; LDSByteSize: 0 bytes/workgroup (compile time only)
; SGPRBlocks: 0
; VGPRBlocks: 3
; NumSGPRsForWavesPerEU: 36
; NumVGPRsForWavesPerEU: 29
; Occupancy: 16
; WaveLimiterHint : 1
; COMPUTE_PGM_RSRC2:SCRATCH_EN: 0
; COMPUTE_PGM_RSRC2:USER_SGPR: 2
; COMPUTE_PGM_RSRC2:TRAP_HANDLER: 0
; COMPUTE_PGM_RSRC2:TGID_X_EN: 1
; COMPUTE_PGM_RSRC2:TGID_Y_EN: 0
; COMPUTE_PGM_RSRC2:TGID_Z_EN: 0
; COMPUTE_PGM_RSRC2:TIDIG_COMP_CNT: 0
	.section	.text._ZN9rocsparseL22bsrxmvn_general_kernelILj64ELj8E21rocsparse_complex_numIdEiidS2_S2_EEv20rocsparse_direction_NS_24const_host_device_scalarIT1_EET3_PKS7_PKT2_SC_S9_PKT4_S7_PKT5_S6_PT6_21rocsparse_index_base_b,"axG",@progbits,_ZN9rocsparseL22bsrxmvn_general_kernelILj64ELj8E21rocsparse_complex_numIdEiidS2_S2_EEv20rocsparse_direction_NS_24const_host_device_scalarIT1_EET3_PKS7_PKT2_SC_S9_PKT4_S7_PKT5_S6_PT6_21rocsparse_index_base_b,comdat
	.globl	_ZN9rocsparseL22bsrxmvn_general_kernelILj64ELj8E21rocsparse_complex_numIdEiidS2_S2_EEv20rocsparse_direction_NS_24const_host_device_scalarIT1_EET3_PKS7_PKT2_SC_S9_PKT4_S7_PKT5_S6_PT6_21rocsparse_index_base_b ; -- Begin function _ZN9rocsparseL22bsrxmvn_general_kernelILj64ELj8E21rocsparse_complex_numIdEiidS2_S2_EEv20rocsparse_direction_NS_24const_host_device_scalarIT1_EET3_PKS7_PKT2_SC_S9_PKT4_S7_PKT5_S6_PT6_21rocsparse_index_base_b
	.p2align	8
	.type	_ZN9rocsparseL22bsrxmvn_general_kernelILj64ELj8E21rocsparse_complex_numIdEiidS2_S2_EEv20rocsparse_direction_NS_24const_host_device_scalarIT1_EET3_PKS7_PKT2_SC_S9_PKT4_S7_PKT5_S6_PT6_21rocsparse_index_base_b,@function
_ZN9rocsparseL22bsrxmvn_general_kernelILj64ELj8E21rocsparse_complex_numIdEiidS2_S2_EEv20rocsparse_direction_NS_24const_host_device_scalarIT1_EET3_PKS7_PKT2_SC_S9_PKT4_S7_PKT5_S6_PT6_21rocsparse_index_base_b: ; @_ZN9rocsparseL22bsrxmvn_general_kernelILj64ELj8E21rocsparse_complex_numIdEiidS2_S2_EEv20rocsparse_direction_NS_24const_host_device_scalarIT1_EET3_PKS7_PKT2_SC_S9_PKT4_S7_PKT5_S6_PT6_21rocsparse_index_base_b
; %bb.0:
	s_clause 0x1
	s_load_b64 s[12:13], s[0:1], 0x70
	s_load_b64 s[2:3], s[0:1], 0x8
	s_add_nc_u64 s[4:5], s[0:1], 8
	s_load_b64 s[6:7], s[0:1], 0x58
	s_wait_kmcnt 0x0
	s_bitcmp1_b32 s13, 0
	s_cselect_b32 s2, s4, s2
	s_cselect_b32 s3, s5, s3
	s_delay_alu instid0(SALU_CYCLE_1)
	v_dual_mov_b32 v1, s2 :: v_dual_mov_b32 v2, s3
	s_add_nc_u64 s[2:3], s[0:1], 0x58
	s_wait_alu 0xfffe
	s_cselect_b32 s2, s2, s6
	s_cselect_b32 s3, s3, s7
	flat_load_b128 v[1:4], v[1:2]
	s_wait_alu 0xfffe
	v_dual_mov_b32 v5, s2 :: v_dual_mov_b32 v6, s3
	flat_load_b128 v[5:8], v[5:6]
	s_wait_loadcnt_dscnt 0x101
	v_cmp_eq_f64_e32 vcc_lo, 0, v[1:2]
	v_cmp_eq_f64_e64 s2, 0, v[3:4]
	s_and_b32 s4, vcc_lo, s2
	s_mov_b32 s2, -1
	s_and_saveexec_b32 s3, s4
	s_cbranch_execz .LBB90_2
; %bb.1:
	s_wait_loadcnt_dscnt 0x0
	v_cmp_neq_f64_e32 vcc_lo, 1.0, v[5:6]
	v_cmp_neq_f64_e64 s2, 0, v[7:8]
	s_wait_alu 0xfffe
	s_or_b32 s2, vcc_lo, s2
	s_wait_alu 0xfffe
	s_or_not1_b32 s2, s2, exec_lo
.LBB90_2:
	s_wait_alu 0xfffe
	s_or_b32 exec_lo, exec_lo, s3
	s_and_saveexec_b32 s3, s2
	s_cbranch_execz .LBB90_25
; %bb.3:
	s_load_b64 s[2:3], s[0:1], 0x20
	s_wait_kmcnt 0x0
	s_cmp_eq_u64 s[2:3], 0
	s_cbranch_scc1 .LBB90_5
; %bb.4:
	s_mov_b32 s4, ttmp9
	s_ashr_i32 s5, ttmp9, 31
	s_delay_alu instid0(SALU_CYCLE_1) | instskip(NEXT) | instid1(SALU_CYCLE_1)
	s_lshl_b64 s[4:5], s[4:5], 2
	s_add_nc_u64 s[2:3], s[2:3], s[4:5]
	s_load_b32 s2, s[2:3], 0x0
	s_wait_kmcnt 0x0
	s_sub_co_i32 s20, s2, s12
	s_branch .LBB90_6
.LBB90_5:
	s_mov_b32 s20, ttmp9
.LBB90_6:
	s_load_b32 s14, s[0:1], 0x48
	v_lshrrev_b32_e32 v13, 3, v0
	s_wait_kmcnt 0x0
	s_delay_alu instid0(VALU_DEP_1)
	v_cmp_gt_i32_e32 vcc_lo, s14, v13
	s_and_b32 exec_lo, exec_lo, vcc_lo
	s_cbranch_execz .LBB90_25
; %bb.7:
	s_load_b256 s[4:11], s[0:1], 0x28
	s_ashr_i32 s21, s20, 31
	s_wait_loadcnt_dscnt 0x0
	v_cmp_eq_f64_e32 vcc_lo, 0, v[5:6]
	s_lshl_b64 s[18:19], s[20:21], 2
	v_cmp_eq_f64_e64 s2, 0, v[7:8]
	v_mbcnt_lo_u32_b32 v9, -1, 0
	s_load_b32 s24, s[0:1], 0x0
	v_dual_mov_b32 v14, 0 :: v_dual_and_b32 v15, 7, v0
	v_mul_lo_u32 v0, s14, v13
	s_delay_alu instid0(VALU_DEP_3)
	v_xor_b32_e32 v10, 4, v9
	v_xor_b32_e32 v11, 2, v9
	;; [unrolled: 1-line block ×3, first 2 shown]
	v_mul_lo_u32 v23, s14, v15
	s_mov_b32 s15, 0
	v_cmp_gt_i32_e64 s3, 32, v10
	s_mul_i32 s13, s20, s14
	v_cndmask_b32_e64 v10, v9, v10, s3
	s_wait_kmcnt 0x0
	s_add_nc_u64 s[22:23], s[4:5], s[18:19]
	s_load_b32 s21, s[22:23], 0x0
	s_clause 0x1
	s_load_b64 s[4:5], s[0:1], 0x68
	s_load_b64 s[16:17], s[0:1], 0x50
	s_add_nc_u64 s[0:1], s[6:7], s[18:19]
	s_add_nc_u64 s[22:23], s[22:23], 4
	v_cmp_gt_i32_e64 s3, 32, v11
	v_lshlrev_b32_e32 v24, 2, v10
	s_wait_alu 0xf1ff
	s_delay_alu instid0(VALU_DEP_2) | instskip(SKIP_1) | instid1(VALU_DEP_2)
	v_cndmask_b32_e64 v11, v9, v11, s3
	v_cmp_gt_i32_e64 s3, 32, v12
	v_dual_mov_b32 v16, v14 :: v_dual_lshlrev_b32 v25, 2, v11
	s_wait_alu 0xf1ff
	s_delay_alu instid0(VALU_DEP_2) | instskip(SKIP_3) | instid1(VALU_DEP_1)
	v_cndmask_b32_e64 v9, v9, v12, s3
	s_wait_kmcnt 0x0
	s_sub_co_i32 s18, s21, s12
	s_cmp_eq_u64 s[6:7], 0
	v_lshlrev_b32_e32 v26, 2, v9
	s_cselect_b32 s1, s23, s1
	s_cselect_b32 s0, s22, s0
	s_mul_u64 s[6:7], s[14:15], s[14:15]
	s_load_b32 s19, s[0:1], 0x0
	v_cmp_gt_u32_e64 s0, s14, v15
	v_cmp_eq_u32_e64 s1, 7, v15
	s_wait_kmcnt 0x0
	s_sub_co_i32 s22, s19, s12
	s_cmp_lt_i32 s21, s19
	s_cselect_b32 s23, -1, 0
	s_cmp_lg_u32 s24, 0
	s_cselect_b32 s24, -1, 0
	s_ashr_i32 s19, s18, 31
	s_and_b32 s25, vcc_lo, s2
	s_mul_u64 s[2:3], s[18:19], s[6:7]
	s_lshl_b32 s19, s14, 3
	s_branch .LBB90_9
.LBB90_8:                               ;   in Loop: Header=BB90_9 Depth=1
	s_wait_alu 0xfffe
	s_or_b32 exec_lo, exec_lo, s20
	v_add_nc_u32_e32 v13, 8, v13
	v_add_nc_u32_e32 v0, s19, v0
	s_delay_alu instid0(VALU_DEP_2)
	v_cmp_le_i32_e32 vcc_lo, s14, v13
	s_or_b32 s15, vcc_lo, s15
	s_wait_alu 0xfffe
	s_and_not1_b32 exec_lo, exec_lo, s15
	s_cbranch_execz .LBB90_25
.LBB90_9:                               ; =>This Loop Header: Depth=1
                                        ;     Child Loop BB90_13 Depth 2
                                        ;       Child Loop BB90_16 Depth 3
	v_mov_b32_e32 v9, 0
	v_dual_mov_b32 v10, 0 :: v_dual_mov_b32 v11, 0
	v_mov_b32_e32 v12, 0
	s_and_not1_b32 vcc_lo, exec_lo, s23
	s_wait_alu 0xfffe
	s_cbranch_vccnz .LBB90_20
; %bb.10:                               ;   in Loop: Header=BB90_9 Depth=1
	s_wait_dscnt 0x3
	v_ashrrev_i32_e32 v17, 31, v0
	v_mov_b32_e32 v9, 0
	v_add_co_u32 v27, vcc_lo, s2, v0
	v_dual_mov_b32 v10, 0 :: v_dual_mov_b32 v11, 0
	v_mov_b32_e32 v12, 0
	s_wait_alu 0xfffd
	v_add_co_ci_u32_e64 v28, null, s3, v17, vcc_lo
	s_mov_b32 s20, s18
	s_branch .LBB90_13
.LBB90_11:                              ;   in Loop: Header=BB90_13 Depth=2
	s_or_b32 exec_lo, exec_lo, s21
.LBB90_12:                              ;   in Loop: Header=BB90_13 Depth=2
	s_wait_alu 0xfffe
	s_or_b32 exec_lo, exec_lo, s26
	v_add_co_u32 v27, vcc_lo, v27, s6
	s_wait_alu 0xfffd
	v_add_co_ci_u32_e64 v28, null, s7, v28, vcc_lo
	s_add_co_i32 s20, s20, 1
	s_wait_alu 0xfffe
	s_cmp_ge_i32 s20, s22
	s_cbranch_scc1 .LBB90_20
.LBB90_13:                              ;   Parent Loop BB90_9 Depth=1
                                        ; =>  This Loop Header: Depth=2
                                        ;       Child Loop BB90_16 Depth 3
	s_and_saveexec_b32 s26, s0
	s_cbranch_execz .LBB90_12
; %bb.14:                               ;   in Loop: Header=BB90_13 Depth=2
	s_wait_alu 0xfffe
	s_ashr_i32 s21, s20, 31
	s_wait_dscnt 0x2
	v_mad_co_u64_u32 v[17:18], null, s6, s20, v[13:14]
	s_wait_alu 0xfffe
	s_lshl_b64 s[28:29], s[20:21], 2
	s_mul_i32 s21, s6, s21
	s_wait_alu 0xfffe
	s_add_nc_u64 s[28:29], s[8:9], s[28:29]
	s_wait_dscnt 0x0
	v_dual_mov_b32 v29, v23 :: v_dual_mov_b32 v20, v16
	s_load_b32 s27, s[28:29], 0x0
	s_mul_i32 s28, s7, s20
	v_mov_b32_e32 v19, v15
	s_wait_alu 0xfffe
	v_add3_u32 v18, s21, s28, v18
	s_wait_kmcnt 0x0
	s_sub_co_i32 s21, s27, s12
	s_wait_alu 0xfffe
	s_mul_i32 s27, s21, s14
	s_mov_b32 s21, 0
	s_branch .LBB90_16
.LBB90_15:                              ;   in Loop: Header=BB90_16 Depth=3
	v_add_nc_u32_e32 v30, s27, v19
	s_delay_alu instid0(VALU_DEP_2) | instskip(SKIP_1) | instid1(VALU_DEP_3)
	v_lshlrev_b64_e32 v[21:22], 3, v[21:22]
	v_add_nc_u32_e32 v29, s19, v29
	v_ashrrev_i32_e32 v31, 31, v30
	s_delay_alu instid0(VALU_DEP_3) | instskip(SKIP_1) | instid1(VALU_DEP_4)
	v_add_co_u32 v21, vcc_lo, s10, v21
	s_wait_alu 0xfffd
	v_add_co_ci_u32_e64 v22, null, s11, v22, vcc_lo
	s_delay_alu instid0(VALU_DEP_3) | instskip(NEXT) | instid1(VALU_DEP_1)
	v_lshlrev_b64_e32 v[30:31], 4, v[30:31]
	v_add_co_u32 v30, vcc_lo, s16, v30
	s_wait_alu 0xfffd
	s_delay_alu instid0(VALU_DEP_2)
	v_add_co_ci_u32_e64 v31, null, s17, v31, vcc_lo
	v_add_co_u32 v19, vcc_lo, v19, 8
	global_load_b64 v[21:22], v[21:22], off
	global_load_b128 v[30:33], v[30:31], off
	s_wait_alu 0xfffd
	v_add_co_ci_u32_e64 v20, null, 0, v20, vcc_lo
	v_cmp_le_i32_e32 vcc_lo, s14, v19
	s_or_b32 s21, vcc_lo, s21
	s_wait_loadcnt 0x0
	v_fma_f64 v[11:12], v[21:22], v[30:31], v[11:12]
	v_fma_f64 v[9:10], v[30:31], 0, v[9:10]
	s_delay_alu instid0(VALU_DEP_2) | instskip(NEXT) | instid1(VALU_DEP_2)
	v_fma_f64 v[11:12], 0x80000000, v[32:33], v[11:12]
	v_fma_f64 v[9:10], v[21:22], v[32:33], v[9:10]
	s_wait_alu 0xfffe
	s_and_not1_b32 exec_lo, exec_lo, s21
	s_cbranch_execz .LBB90_11
.LBB90_16:                              ;   Parent Loop BB90_9 Depth=1
                                        ;     Parent Loop BB90_13 Depth=2
                                        ; =>    This Inner Loop Header: Depth=3
	s_and_b32 vcc_lo, exec_lo, s24
	s_wait_alu 0xfffe
	s_cbranch_vccz .LBB90_18
; %bb.17:                               ;   in Loop: Header=BB90_16 Depth=3
	v_ashrrev_i32_e32 v22, 31, v29
	v_add_co_u32 v21, vcc_lo, v17, v29
	s_wait_alu 0xfffd
	s_delay_alu instid0(VALU_DEP_2)
	v_add_co_ci_u32_e64 v22, null, v18, v22, vcc_lo
	s_cbranch_execnz .LBB90_15
	s_branch .LBB90_19
.LBB90_18:                              ;   in Loop: Header=BB90_16 Depth=3
                                        ; implicit-def: $vgpr21_vgpr22
.LBB90_19:                              ;   in Loop: Header=BB90_16 Depth=3
	v_add_co_u32 v21, vcc_lo, v27, v19
	s_wait_alu 0xfffd
	v_add_co_ci_u32_e64 v22, null, v28, v20, vcc_lo
	s_branch .LBB90_15
.LBB90_20:                              ;   in Loop: Header=BB90_9 Depth=1
	s_wait_dscnt 0x3
	ds_bpermute_b32 v17, v24, v11
	s_wait_dscnt 0x3
	ds_bpermute_b32 v18, v24, v12
	;; [unrolled: 2-line block ×4, first 2 shown]
	s_wait_dscnt 0x2
	v_add_f64_e32 v[11:12], v[11:12], v[17:18]
	s_wait_dscnt 0x0
	v_add_f64_e32 v[17:18], v[9:10], v[19:20]
	ds_bpermute_b32 v9, v25, v11
	ds_bpermute_b32 v10, v25, v12
	ds_bpermute_b32 v19, v25, v17
	ds_bpermute_b32 v20, v25, v18
	s_wait_dscnt 0x2
	v_add_f64_e32 v[9:10], v[11:12], v[9:10]
	s_wait_dscnt 0x0
	v_add_f64_e32 v[11:12], v[17:18], v[19:20]
	ds_bpermute_b32 v17, v26, v9
	ds_bpermute_b32 v18, v26, v10
	;; [unrolled: 1-line block ×4, first 2 shown]
	s_and_saveexec_b32 s20, s1
	s_cbranch_execz .LBB90_8
; %bb.21:                               ;   in Loop: Header=BB90_9 Depth=1
	s_wait_dscnt 0x0
	v_add_f64_e32 v[11:12], v[11:12], v[19:20]
	v_add_f64_e32 v[17:18], v[9:10], v[17:18]
	s_delay_alu instid0(VALU_DEP_2) | instskip(SKIP_1) | instid1(VALU_DEP_2)
	v_mul_f64_e64 v[9:10], v[11:12], -v[3:4]
	v_mul_f64_e32 v[11:12], v[1:2], v[11:12]
	v_fma_f64 v[9:10], v[1:2], v[17:18], v[9:10]
	s_delay_alu instid0(VALU_DEP_2) | instskip(SKIP_1) | instid1(VALU_DEP_1)
	v_fma_f64 v[11:12], v[3:4], v[17:18], v[11:12]
	v_add_nc_u32_e32 v17, s13, v13
	v_ashrrev_i32_e32 v18, 31, v17
	s_and_saveexec_b32 s21, s25
	s_wait_alu 0xfffe
	s_xor_b32 s21, exec_lo, s21
	s_cbranch_execz .LBB90_23
; %bb.22:                               ;   in Loop: Header=BB90_9 Depth=1
	v_lshlrev_b64_e32 v[17:18], 4, v[17:18]
	s_delay_alu instid0(VALU_DEP_1) | instskip(SKIP_1) | instid1(VALU_DEP_2)
	v_add_co_u32 v17, vcc_lo, s4, v17
	s_wait_alu 0xfffd
	v_add_co_ci_u32_e64 v18, null, s5, v18, vcc_lo
	global_store_b128 v[17:18], v[9:12], off
                                        ; implicit-def: $vgpr17
                                        ; implicit-def: $vgpr9_vgpr10
.LBB90_23:                              ;   in Loop: Header=BB90_9 Depth=1
	s_wait_alu 0xfffe
	s_and_not1_saveexec_b32 s21, s21
	s_cbranch_execz .LBB90_8
; %bb.24:                               ;   in Loop: Header=BB90_9 Depth=1
	v_lshlrev_b64_e32 v[17:18], 4, v[17:18]
	s_delay_alu instid0(VALU_DEP_1) | instskip(SKIP_1) | instid1(VALU_DEP_2)
	v_add_co_u32 v21, vcc_lo, s4, v17
	s_wait_alu 0xfffd
	v_add_co_ci_u32_e64 v22, null, s5, v18, vcc_lo
	global_load_b128 v[17:20], v[21:22], off
	s_wait_loadcnt 0x0
	v_fma_f64 v[9:10], v[5:6], v[17:18], v[9:10]
	v_fma_f64 v[11:12], v[7:8], v[17:18], v[11:12]
	s_delay_alu instid0(VALU_DEP_2) | instskip(NEXT) | instid1(VALU_DEP_2)
	v_fma_f64 v[9:10], -v[7:8], v[19:20], v[9:10]
	v_fma_f64 v[11:12], v[5:6], v[19:20], v[11:12]
	global_store_b128 v[21:22], v[9:12], off
	s_branch .LBB90_8
.LBB90_25:
	s_endpgm
	.section	.rodata,"a",@progbits
	.p2align	6, 0x0
	.amdhsa_kernel _ZN9rocsparseL22bsrxmvn_general_kernelILj64ELj8E21rocsparse_complex_numIdEiidS2_S2_EEv20rocsparse_direction_NS_24const_host_device_scalarIT1_EET3_PKS7_PKT2_SC_S9_PKT4_S7_PKT5_S6_PT6_21rocsparse_index_base_b
		.amdhsa_group_segment_fixed_size 0
		.amdhsa_private_segment_fixed_size 0
		.amdhsa_kernarg_size 120
		.amdhsa_user_sgpr_count 2
		.amdhsa_user_sgpr_dispatch_ptr 0
		.amdhsa_user_sgpr_queue_ptr 0
		.amdhsa_user_sgpr_kernarg_segment_ptr 1
		.amdhsa_user_sgpr_dispatch_id 0
		.amdhsa_user_sgpr_private_segment_size 0
		.amdhsa_wavefront_size32 1
		.amdhsa_uses_dynamic_stack 0
		.amdhsa_enable_private_segment 0
		.amdhsa_system_sgpr_workgroup_id_x 1
		.amdhsa_system_sgpr_workgroup_id_y 0
		.amdhsa_system_sgpr_workgroup_id_z 0
		.amdhsa_system_sgpr_workgroup_info 0
		.amdhsa_system_vgpr_workitem_id 0
		.amdhsa_next_free_vgpr 34
		.amdhsa_next_free_sgpr 30
		.amdhsa_reserve_vcc 1
		.amdhsa_float_round_mode_32 0
		.amdhsa_float_round_mode_16_64 0
		.amdhsa_float_denorm_mode_32 3
		.amdhsa_float_denorm_mode_16_64 3
		.amdhsa_fp16_overflow 0
		.amdhsa_workgroup_processor_mode 1
		.amdhsa_memory_ordered 1
		.amdhsa_forward_progress 1
		.amdhsa_inst_pref_size 12
		.amdhsa_round_robin_scheduling 0
		.amdhsa_exception_fp_ieee_invalid_op 0
		.amdhsa_exception_fp_denorm_src 0
		.amdhsa_exception_fp_ieee_div_zero 0
		.amdhsa_exception_fp_ieee_overflow 0
		.amdhsa_exception_fp_ieee_underflow 0
		.amdhsa_exception_fp_ieee_inexact 0
		.amdhsa_exception_int_div_zero 0
	.end_amdhsa_kernel
	.section	.text._ZN9rocsparseL22bsrxmvn_general_kernelILj64ELj8E21rocsparse_complex_numIdEiidS2_S2_EEv20rocsparse_direction_NS_24const_host_device_scalarIT1_EET3_PKS7_PKT2_SC_S9_PKT4_S7_PKT5_S6_PT6_21rocsparse_index_base_b,"axG",@progbits,_ZN9rocsparseL22bsrxmvn_general_kernelILj64ELj8E21rocsparse_complex_numIdEiidS2_S2_EEv20rocsparse_direction_NS_24const_host_device_scalarIT1_EET3_PKS7_PKT2_SC_S9_PKT4_S7_PKT5_S6_PT6_21rocsparse_index_base_b,comdat
.Lfunc_end90:
	.size	_ZN9rocsparseL22bsrxmvn_general_kernelILj64ELj8E21rocsparse_complex_numIdEiidS2_S2_EEv20rocsparse_direction_NS_24const_host_device_scalarIT1_EET3_PKS7_PKT2_SC_S9_PKT4_S7_PKT5_S6_PT6_21rocsparse_index_base_b, .Lfunc_end90-_ZN9rocsparseL22bsrxmvn_general_kernelILj64ELj8E21rocsparse_complex_numIdEiidS2_S2_EEv20rocsparse_direction_NS_24const_host_device_scalarIT1_EET3_PKS7_PKT2_SC_S9_PKT4_S7_PKT5_S6_PT6_21rocsparse_index_base_b
                                        ; -- End function
	.set _ZN9rocsparseL22bsrxmvn_general_kernelILj64ELj8E21rocsparse_complex_numIdEiidS2_S2_EEv20rocsparse_direction_NS_24const_host_device_scalarIT1_EET3_PKS7_PKT2_SC_S9_PKT4_S7_PKT5_S6_PT6_21rocsparse_index_base_b.num_vgpr, 34
	.set _ZN9rocsparseL22bsrxmvn_general_kernelILj64ELj8E21rocsparse_complex_numIdEiidS2_S2_EEv20rocsparse_direction_NS_24const_host_device_scalarIT1_EET3_PKS7_PKT2_SC_S9_PKT4_S7_PKT5_S6_PT6_21rocsparse_index_base_b.num_agpr, 0
	.set _ZN9rocsparseL22bsrxmvn_general_kernelILj64ELj8E21rocsparse_complex_numIdEiidS2_S2_EEv20rocsparse_direction_NS_24const_host_device_scalarIT1_EET3_PKS7_PKT2_SC_S9_PKT4_S7_PKT5_S6_PT6_21rocsparse_index_base_b.numbered_sgpr, 30
	.set _ZN9rocsparseL22bsrxmvn_general_kernelILj64ELj8E21rocsparse_complex_numIdEiidS2_S2_EEv20rocsparse_direction_NS_24const_host_device_scalarIT1_EET3_PKS7_PKT2_SC_S9_PKT4_S7_PKT5_S6_PT6_21rocsparse_index_base_b.num_named_barrier, 0
	.set _ZN9rocsparseL22bsrxmvn_general_kernelILj64ELj8E21rocsparse_complex_numIdEiidS2_S2_EEv20rocsparse_direction_NS_24const_host_device_scalarIT1_EET3_PKS7_PKT2_SC_S9_PKT4_S7_PKT5_S6_PT6_21rocsparse_index_base_b.private_seg_size, 0
	.set _ZN9rocsparseL22bsrxmvn_general_kernelILj64ELj8E21rocsparse_complex_numIdEiidS2_S2_EEv20rocsparse_direction_NS_24const_host_device_scalarIT1_EET3_PKS7_PKT2_SC_S9_PKT4_S7_PKT5_S6_PT6_21rocsparse_index_base_b.uses_vcc, 1
	.set _ZN9rocsparseL22bsrxmvn_general_kernelILj64ELj8E21rocsparse_complex_numIdEiidS2_S2_EEv20rocsparse_direction_NS_24const_host_device_scalarIT1_EET3_PKS7_PKT2_SC_S9_PKT4_S7_PKT5_S6_PT6_21rocsparse_index_base_b.uses_flat_scratch, 0
	.set _ZN9rocsparseL22bsrxmvn_general_kernelILj64ELj8E21rocsparse_complex_numIdEiidS2_S2_EEv20rocsparse_direction_NS_24const_host_device_scalarIT1_EET3_PKS7_PKT2_SC_S9_PKT4_S7_PKT5_S6_PT6_21rocsparse_index_base_b.has_dyn_sized_stack, 0
	.set _ZN9rocsparseL22bsrxmvn_general_kernelILj64ELj8E21rocsparse_complex_numIdEiidS2_S2_EEv20rocsparse_direction_NS_24const_host_device_scalarIT1_EET3_PKS7_PKT2_SC_S9_PKT4_S7_PKT5_S6_PT6_21rocsparse_index_base_b.has_recursion, 0
	.set _ZN9rocsparseL22bsrxmvn_general_kernelILj64ELj8E21rocsparse_complex_numIdEiidS2_S2_EEv20rocsparse_direction_NS_24const_host_device_scalarIT1_EET3_PKS7_PKT2_SC_S9_PKT4_S7_PKT5_S6_PT6_21rocsparse_index_base_b.has_indirect_call, 0
	.section	.AMDGPU.csdata,"",@progbits
; Kernel info:
; codeLenInByte = 1516
; TotalNumSgprs: 32
; NumVgprs: 34
; ScratchSize: 0
; MemoryBound: 0
; FloatMode: 240
; IeeeMode: 1
; LDSByteSize: 0 bytes/workgroup (compile time only)
; SGPRBlocks: 0
; VGPRBlocks: 4
; NumSGPRsForWavesPerEU: 32
; NumVGPRsForWavesPerEU: 34
; Occupancy: 16
; WaveLimiterHint : 1
; COMPUTE_PGM_RSRC2:SCRATCH_EN: 0
; COMPUTE_PGM_RSRC2:USER_SGPR: 2
; COMPUTE_PGM_RSRC2:TRAP_HANDLER: 0
; COMPUTE_PGM_RSRC2:TGID_X_EN: 1
; COMPUTE_PGM_RSRC2:TGID_Y_EN: 0
; COMPUTE_PGM_RSRC2:TGID_Z_EN: 0
; COMPUTE_PGM_RSRC2:TIDIG_COMP_CNT: 0
	.section	.text._ZN9rocsparseL22bsrxmvn_general_kernelILj256ELj16E21rocsparse_complex_numIdEiidS2_S2_EEv20rocsparse_direction_NS_24const_host_device_scalarIT1_EET3_PKS7_PKT2_SC_S9_PKT4_S7_PKT5_S6_PT6_21rocsparse_index_base_b,"axG",@progbits,_ZN9rocsparseL22bsrxmvn_general_kernelILj256ELj16E21rocsparse_complex_numIdEiidS2_S2_EEv20rocsparse_direction_NS_24const_host_device_scalarIT1_EET3_PKS7_PKT2_SC_S9_PKT4_S7_PKT5_S6_PT6_21rocsparse_index_base_b,comdat
	.globl	_ZN9rocsparseL22bsrxmvn_general_kernelILj256ELj16E21rocsparse_complex_numIdEiidS2_S2_EEv20rocsparse_direction_NS_24const_host_device_scalarIT1_EET3_PKS7_PKT2_SC_S9_PKT4_S7_PKT5_S6_PT6_21rocsparse_index_base_b ; -- Begin function _ZN9rocsparseL22bsrxmvn_general_kernelILj256ELj16E21rocsparse_complex_numIdEiidS2_S2_EEv20rocsparse_direction_NS_24const_host_device_scalarIT1_EET3_PKS7_PKT2_SC_S9_PKT4_S7_PKT5_S6_PT6_21rocsparse_index_base_b
	.p2align	8
	.type	_ZN9rocsparseL22bsrxmvn_general_kernelILj256ELj16E21rocsparse_complex_numIdEiidS2_S2_EEv20rocsparse_direction_NS_24const_host_device_scalarIT1_EET3_PKS7_PKT2_SC_S9_PKT4_S7_PKT5_S6_PT6_21rocsparse_index_base_b,@function
_ZN9rocsparseL22bsrxmvn_general_kernelILj256ELj16E21rocsparse_complex_numIdEiidS2_S2_EEv20rocsparse_direction_NS_24const_host_device_scalarIT1_EET3_PKS7_PKT2_SC_S9_PKT4_S7_PKT5_S6_PT6_21rocsparse_index_base_b: ; @_ZN9rocsparseL22bsrxmvn_general_kernelILj256ELj16E21rocsparse_complex_numIdEiidS2_S2_EEv20rocsparse_direction_NS_24const_host_device_scalarIT1_EET3_PKS7_PKT2_SC_S9_PKT4_S7_PKT5_S6_PT6_21rocsparse_index_base_b
; %bb.0:
	s_clause 0x1
	s_load_b64 s[12:13], s[0:1], 0x70
	s_load_b64 s[2:3], s[0:1], 0x8
	s_add_nc_u64 s[4:5], s[0:1], 8
	s_load_b64 s[6:7], s[0:1], 0x58
	s_wait_kmcnt 0x0
	s_bitcmp1_b32 s13, 0
	s_cselect_b32 s2, s4, s2
	s_cselect_b32 s3, s5, s3
	s_delay_alu instid0(SALU_CYCLE_1)
	v_dual_mov_b32 v1, s2 :: v_dual_mov_b32 v2, s3
	s_add_nc_u64 s[2:3], s[0:1], 0x58
	s_wait_alu 0xfffe
	s_cselect_b32 s2, s2, s6
	s_cselect_b32 s3, s3, s7
	flat_load_b128 v[1:4], v[1:2]
	s_wait_alu 0xfffe
	v_dual_mov_b32 v5, s2 :: v_dual_mov_b32 v6, s3
	flat_load_b128 v[5:8], v[5:6]
	s_wait_loadcnt_dscnt 0x101
	v_cmp_eq_f64_e32 vcc_lo, 0, v[1:2]
	v_cmp_eq_f64_e64 s2, 0, v[3:4]
	s_and_b32 s4, vcc_lo, s2
	s_mov_b32 s2, -1
	s_and_saveexec_b32 s3, s4
	s_cbranch_execz .LBB91_2
; %bb.1:
	s_wait_loadcnt_dscnt 0x0
	v_cmp_neq_f64_e32 vcc_lo, 1.0, v[5:6]
	v_cmp_neq_f64_e64 s2, 0, v[7:8]
	s_wait_alu 0xfffe
	s_or_b32 s2, vcc_lo, s2
	s_wait_alu 0xfffe
	s_or_not1_b32 s2, s2, exec_lo
.LBB91_2:
	s_wait_alu 0xfffe
	s_or_b32 exec_lo, exec_lo, s3
	s_and_saveexec_b32 s3, s2
	s_cbranch_execz .LBB91_25
; %bb.3:
	s_load_b64 s[2:3], s[0:1], 0x20
	s_wait_kmcnt 0x0
	s_cmp_eq_u64 s[2:3], 0
	s_cbranch_scc1 .LBB91_5
; %bb.4:
	s_mov_b32 s4, ttmp9
	s_ashr_i32 s5, ttmp9, 31
	s_delay_alu instid0(SALU_CYCLE_1) | instskip(NEXT) | instid1(SALU_CYCLE_1)
	s_lshl_b64 s[4:5], s[4:5], 2
	s_add_nc_u64 s[2:3], s[2:3], s[4:5]
	s_load_b32 s2, s[2:3], 0x0
	s_wait_kmcnt 0x0
	s_sub_co_i32 s18, s2, s12
	s_branch .LBB91_6
.LBB91_5:
	s_mov_b32 s18, ttmp9
.LBB91_6:
	s_load_b32 s14, s[0:1], 0x48
	v_lshrrev_b32_e32 v13, 4, v0
	s_wait_kmcnt 0x0
	s_delay_alu instid0(VALU_DEP_1)
	v_cmp_gt_i32_e32 vcc_lo, s14, v13
	s_and_b32 exec_lo, exec_lo, vcc_lo
	s_cbranch_execz .LBB91_25
; %bb.7:
	s_load_b256 s[4:11], s[0:1], 0x28
	s_ashr_i32 s19, s18, 31
	v_mbcnt_lo_u32_b32 v9, -1, 0
	s_lshl_b64 s[20:21], s[18:19], 2
	s_wait_loadcnt_dscnt 0x0
	v_cmp_eq_f64_e32 vcc_lo, 0, v[5:6]
	v_cmp_eq_f64_e64 s2, 0, v[7:8]
	s_mul_i32 s13, s18, s14
	v_xor_b32_e32 v10, 8, v9
	s_load_b32 s24, s[0:1], 0x0
	v_xor_b32_e32 v11, 4, v9
	v_xor_b32_e32 v12, 2, v9
	;; [unrolled: 1-line block ×3, first 2 shown]
	v_cmp_gt_i32_e64 s3, 32, v10
	v_dual_mov_b32 v14, 0 :: v_dual_and_b32 v15, 15, v0
	v_mul_lo_u32 v0, s14, v13
	s_mov_b32 s15, 0
	s_wait_alu 0xf1ff
	v_cndmask_b32_e64 v10, v9, v10, s3
	v_cmp_gt_i32_e64 s3, 32, v11
	v_mul_lo_u32 v23, s14, v15
	s_wait_kmcnt 0x0
	s_add_nc_u64 s[22:23], s[4:5], s[20:21]
	s_load_b32 s19, s[22:23], 0x0
	s_clause 0x1
	s_load_b64 s[4:5], s[0:1], 0x68
	s_load_b64 s[16:17], s[0:1], 0x50
	s_add_nc_u64 s[0:1], s[6:7], s[20:21]
	s_add_nc_u64 s[20:21], s[22:23], 4
	v_cndmask_b32_e64 v11, v9, v11, s3
	v_cmp_gt_i32_e64 s3, 32, v12
	v_mov_b32_e32 v16, v14
	v_lshlrev_b32_e32 v24, 2, v10
	s_delay_alu instid0(VALU_DEP_4) | instskip(SKIP_3) | instid1(VALU_DEP_2)
	v_lshlrev_b32_e32 v25, 2, v11
	s_wait_alu 0xf1ff
	v_cndmask_b32_e64 v12, v9, v12, s3
	v_cmp_gt_i32_e64 s3, 32, v17
	v_lshlrev_b32_e32 v26, 2, v12
	s_wait_alu 0xf1ff
	s_delay_alu instid0(VALU_DEP_2) | instskip(SKIP_3) | instid1(VALU_DEP_1)
	v_cndmask_b32_e64 v9, v9, v17, s3
	s_wait_kmcnt 0x0
	s_sub_co_i32 s18, s19, s12
	s_cmp_eq_u64 s[6:7], 0
	v_lshlrev_b32_e32 v27, 2, v9
	s_cselect_b32 s1, s21, s1
	s_cselect_b32 s0, s20, s0
	s_mul_u64 s[6:7], s[14:15], s[14:15]
	s_load_b32 s20, s[0:1], 0x0
	v_cmp_gt_u32_e64 s0, s14, v15
	v_cmp_eq_u32_e64 s1, 15, v15
	s_wait_kmcnt 0x0
	s_sub_co_i32 s22, s20, s12
	s_cmp_lt_i32 s19, s20
	s_cselect_b32 s23, -1, 0
	s_cmp_lg_u32 s24, 0
	s_cselect_b32 s24, -1, 0
	s_ashr_i32 s19, s18, 31
	s_and_b32 s25, vcc_lo, s2
	s_mul_u64 s[2:3], s[18:19], s[6:7]
	s_lshl_b32 s19, s14, 4
	s_branch .LBB91_9
.LBB91_8:                               ;   in Loop: Header=BB91_9 Depth=1
	s_wait_alu 0xfffe
	s_or_b32 exec_lo, exec_lo, s20
	v_add_nc_u32_e32 v13, 16, v13
	v_add_nc_u32_e32 v0, s19, v0
	s_delay_alu instid0(VALU_DEP_2)
	v_cmp_le_i32_e32 vcc_lo, s14, v13
	s_or_b32 s15, vcc_lo, s15
	s_wait_alu 0xfffe
	s_and_not1_b32 exec_lo, exec_lo, s15
	s_cbranch_execz .LBB91_25
.LBB91_9:                               ; =>This Loop Header: Depth=1
                                        ;     Child Loop BB91_13 Depth 2
                                        ;       Child Loop BB91_16 Depth 3
	v_mov_b32_e32 v9, 0
	v_dual_mov_b32 v10, 0 :: v_dual_mov_b32 v11, 0
	v_mov_b32_e32 v12, 0
	s_and_not1_b32 vcc_lo, exec_lo, s23
	s_wait_alu 0xfffe
	s_cbranch_vccnz .LBB91_20
; %bb.10:                               ;   in Loop: Header=BB91_9 Depth=1
	s_wait_dscnt 0x3
	v_ashrrev_i32_e32 v17, 31, v0
	v_mov_b32_e32 v9, 0
	v_add_co_u32 v28, vcc_lo, s2, v0
	v_dual_mov_b32 v10, 0 :: v_dual_mov_b32 v11, 0
	v_mov_b32_e32 v12, 0
	s_wait_alu 0xfffd
	v_add_co_ci_u32_e64 v29, null, s3, v17, vcc_lo
	s_mov_b32 s20, s18
	s_branch .LBB91_13
.LBB91_11:                              ;   in Loop: Header=BB91_13 Depth=2
	s_or_b32 exec_lo, exec_lo, s21
.LBB91_12:                              ;   in Loop: Header=BB91_13 Depth=2
	s_wait_alu 0xfffe
	s_or_b32 exec_lo, exec_lo, s26
	v_add_co_u32 v28, vcc_lo, v28, s6
	s_wait_alu 0xfffd
	v_add_co_ci_u32_e64 v29, null, s7, v29, vcc_lo
	s_add_co_i32 s20, s20, 1
	s_wait_alu 0xfffe
	s_cmp_ge_i32 s20, s22
	s_cbranch_scc1 .LBB91_20
.LBB91_13:                              ;   Parent Loop BB91_9 Depth=1
                                        ; =>  This Loop Header: Depth=2
                                        ;       Child Loop BB91_16 Depth 3
	s_and_saveexec_b32 s26, s0
	s_cbranch_execz .LBB91_12
; %bb.14:                               ;   in Loop: Header=BB91_13 Depth=2
	s_wait_alu 0xfffe
	s_ashr_i32 s21, s20, 31
	s_wait_dscnt 0x2
	v_mad_co_u64_u32 v[17:18], null, s6, s20, v[13:14]
	s_wait_alu 0xfffe
	s_lshl_b64 s[28:29], s[20:21], 2
	s_mul_i32 s21, s6, s21
	s_wait_alu 0xfffe
	s_add_nc_u64 s[28:29], s[8:9], s[28:29]
	s_wait_dscnt 0x0
	v_mov_b32_e32 v20, v16
	s_load_b32 s27, s[28:29], 0x0
	s_mul_i32 s28, s7, s20
	v_dual_mov_b32 v30, v23 :: v_dual_mov_b32 v19, v15
	s_wait_alu 0xfffe
	v_add3_u32 v18, s21, s28, v18
	s_wait_kmcnt 0x0
	s_sub_co_i32 s21, s27, s12
	s_wait_alu 0xfffe
	s_mul_i32 s27, s21, s14
	s_mov_b32 s21, 0
	s_branch .LBB91_16
.LBB91_15:                              ;   in Loop: Header=BB91_16 Depth=3
	v_add_nc_u32_e32 v31, s27, v19
	s_delay_alu instid0(VALU_DEP_2) | instskip(SKIP_1) | instid1(VALU_DEP_3)
	v_lshlrev_b64_e32 v[21:22], 3, v[21:22]
	v_add_nc_u32_e32 v30, s19, v30
	v_ashrrev_i32_e32 v32, 31, v31
	s_delay_alu instid0(VALU_DEP_3) | instskip(SKIP_1) | instid1(VALU_DEP_4)
	v_add_co_u32 v21, vcc_lo, s10, v21
	s_wait_alu 0xfffd
	v_add_co_ci_u32_e64 v22, null, s11, v22, vcc_lo
	s_delay_alu instid0(VALU_DEP_3) | instskip(NEXT) | instid1(VALU_DEP_1)
	v_lshlrev_b64_e32 v[31:32], 4, v[31:32]
	v_add_co_u32 v31, vcc_lo, s16, v31
	s_wait_alu 0xfffd
	s_delay_alu instid0(VALU_DEP_2)
	v_add_co_ci_u32_e64 v32, null, s17, v32, vcc_lo
	v_add_co_u32 v19, vcc_lo, v19, 16
	global_load_b64 v[21:22], v[21:22], off
	global_load_b128 v[31:34], v[31:32], off
	s_wait_alu 0xfffd
	v_add_co_ci_u32_e64 v20, null, 0, v20, vcc_lo
	v_cmp_le_i32_e32 vcc_lo, s14, v19
	s_or_b32 s21, vcc_lo, s21
	s_wait_loadcnt 0x0
	v_fma_f64 v[11:12], v[21:22], v[31:32], v[11:12]
	v_fma_f64 v[9:10], v[31:32], 0, v[9:10]
	s_delay_alu instid0(VALU_DEP_2) | instskip(NEXT) | instid1(VALU_DEP_2)
	v_fma_f64 v[11:12], 0x80000000, v[33:34], v[11:12]
	v_fma_f64 v[9:10], v[21:22], v[33:34], v[9:10]
	s_wait_alu 0xfffe
	s_and_not1_b32 exec_lo, exec_lo, s21
	s_cbranch_execz .LBB91_11
.LBB91_16:                              ;   Parent Loop BB91_9 Depth=1
                                        ;     Parent Loop BB91_13 Depth=2
                                        ; =>    This Inner Loop Header: Depth=3
	s_and_b32 vcc_lo, exec_lo, s24
	s_wait_alu 0xfffe
	s_cbranch_vccz .LBB91_18
; %bb.17:                               ;   in Loop: Header=BB91_16 Depth=3
	v_ashrrev_i32_e32 v22, 31, v30
	v_add_co_u32 v21, vcc_lo, v17, v30
	s_wait_alu 0xfffd
	s_delay_alu instid0(VALU_DEP_2)
	v_add_co_ci_u32_e64 v22, null, v18, v22, vcc_lo
	s_cbranch_execnz .LBB91_15
	s_branch .LBB91_19
.LBB91_18:                              ;   in Loop: Header=BB91_16 Depth=3
                                        ; implicit-def: $vgpr21_vgpr22
.LBB91_19:                              ;   in Loop: Header=BB91_16 Depth=3
	v_add_co_u32 v21, vcc_lo, v28, v19
	s_wait_alu 0xfffd
	v_add_co_ci_u32_e64 v22, null, v29, v20, vcc_lo
	s_branch .LBB91_15
.LBB91_20:                              ;   in Loop: Header=BB91_9 Depth=1
	s_wait_dscnt 0x3
	ds_bpermute_b32 v17, v24, v11
	s_wait_dscnt 0x3
	ds_bpermute_b32 v18, v24, v12
	;; [unrolled: 2-line block ×4, first 2 shown]
	s_wait_dscnt 0x2
	v_add_f64_e32 v[11:12], v[11:12], v[17:18]
	s_wait_dscnt 0x0
	v_add_f64_e32 v[9:10], v[9:10], v[19:20]
	ds_bpermute_b32 v17, v25, v11
	ds_bpermute_b32 v18, v25, v12
	ds_bpermute_b32 v19, v25, v9
	ds_bpermute_b32 v20, v25, v10
	s_wait_dscnt 0x2
	v_add_f64_e32 v[11:12], v[11:12], v[17:18]
	s_wait_dscnt 0x0
	v_add_f64_e32 v[17:18], v[9:10], v[19:20]
	ds_bpermute_b32 v9, v26, v11
	ds_bpermute_b32 v10, v26, v12
	ds_bpermute_b32 v19, v26, v17
	ds_bpermute_b32 v20, v26, v18
	s_wait_dscnt 0x2
	v_add_f64_e32 v[9:10], v[11:12], v[9:10]
	s_wait_dscnt 0x0
	v_add_f64_e32 v[11:12], v[17:18], v[19:20]
	ds_bpermute_b32 v17, v27, v9
	ds_bpermute_b32 v18, v27, v10
	ds_bpermute_b32 v19, v27, v11
	ds_bpermute_b32 v20, v27, v12
	s_and_saveexec_b32 s20, s1
	s_cbranch_execz .LBB91_8
; %bb.21:                               ;   in Loop: Header=BB91_9 Depth=1
	s_wait_dscnt 0x0
	v_add_f64_e32 v[11:12], v[11:12], v[19:20]
	v_add_f64_e32 v[17:18], v[9:10], v[17:18]
	s_delay_alu instid0(VALU_DEP_2) | instskip(SKIP_1) | instid1(VALU_DEP_2)
	v_mul_f64_e64 v[9:10], v[11:12], -v[3:4]
	v_mul_f64_e32 v[11:12], v[1:2], v[11:12]
	v_fma_f64 v[9:10], v[1:2], v[17:18], v[9:10]
	s_delay_alu instid0(VALU_DEP_2) | instskip(SKIP_1) | instid1(VALU_DEP_1)
	v_fma_f64 v[11:12], v[3:4], v[17:18], v[11:12]
	v_add_nc_u32_e32 v17, s13, v13
	v_ashrrev_i32_e32 v18, 31, v17
	s_and_saveexec_b32 s21, s25
	s_wait_alu 0xfffe
	s_xor_b32 s21, exec_lo, s21
	s_cbranch_execz .LBB91_23
; %bb.22:                               ;   in Loop: Header=BB91_9 Depth=1
	v_lshlrev_b64_e32 v[17:18], 4, v[17:18]
	s_delay_alu instid0(VALU_DEP_1) | instskip(SKIP_1) | instid1(VALU_DEP_2)
	v_add_co_u32 v17, vcc_lo, s4, v17
	s_wait_alu 0xfffd
	v_add_co_ci_u32_e64 v18, null, s5, v18, vcc_lo
	global_store_b128 v[17:18], v[9:12], off
                                        ; implicit-def: $vgpr17
                                        ; implicit-def: $vgpr9_vgpr10
.LBB91_23:                              ;   in Loop: Header=BB91_9 Depth=1
	s_wait_alu 0xfffe
	s_and_not1_saveexec_b32 s21, s21
	s_cbranch_execz .LBB91_8
; %bb.24:                               ;   in Loop: Header=BB91_9 Depth=1
	v_lshlrev_b64_e32 v[17:18], 4, v[17:18]
	s_delay_alu instid0(VALU_DEP_1) | instskip(SKIP_1) | instid1(VALU_DEP_2)
	v_add_co_u32 v21, vcc_lo, s4, v17
	s_wait_alu 0xfffd
	v_add_co_ci_u32_e64 v22, null, s5, v18, vcc_lo
	global_load_b128 v[17:20], v[21:22], off
	s_wait_loadcnt 0x0
	v_fma_f64 v[9:10], v[5:6], v[17:18], v[9:10]
	v_fma_f64 v[11:12], v[7:8], v[17:18], v[11:12]
	s_delay_alu instid0(VALU_DEP_2) | instskip(NEXT) | instid1(VALU_DEP_2)
	v_fma_f64 v[9:10], -v[7:8], v[19:20], v[9:10]
	v_fma_f64 v[11:12], v[5:6], v[19:20], v[11:12]
	global_store_b128 v[21:22], v[9:12], off
	s_branch .LBB91_8
.LBB91_25:
	s_endpgm
	.section	.rodata,"a",@progbits
	.p2align	6, 0x0
	.amdhsa_kernel _ZN9rocsparseL22bsrxmvn_general_kernelILj256ELj16E21rocsparse_complex_numIdEiidS2_S2_EEv20rocsparse_direction_NS_24const_host_device_scalarIT1_EET3_PKS7_PKT2_SC_S9_PKT4_S7_PKT5_S6_PT6_21rocsparse_index_base_b
		.amdhsa_group_segment_fixed_size 0
		.amdhsa_private_segment_fixed_size 0
		.amdhsa_kernarg_size 120
		.amdhsa_user_sgpr_count 2
		.amdhsa_user_sgpr_dispatch_ptr 0
		.amdhsa_user_sgpr_queue_ptr 0
		.amdhsa_user_sgpr_kernarg_segment_ptr 1
		.amdhsa_user_sgpr_dispatch_id 0
		.amdhsa_user_sgpr_private_segment_size 0
		.amdhsa_wavefront_size32 1
		.amdhsa_uses_dynamic_stack 0
		.amdhsa_enable_private_segment 0
		.amdhsa_system_sgpr_workgroup_id_x 1
		.amdhsa_system_sgpr_workgroup_id_y 0
		.amdhsa_system_sgpr_workgroup_id_z 0
		.amdhsa_system_sgpr_workgroup_info 0
		.amdhsa_system_vgpr_workitem_id 0
		.amdhsa_next_free_vgpr 35
		.amdhsa_next_free_sgpr 30
		.amdhsa_reserve_vcc 1
		.amdhsa_float_round_mode_32 0
		.amdhsa_float_round_mode_16_64 0
		.amdhsa_float_denorm_mode_32 3
		.amdhsa_float_denorm_mode_16_64 3
		.amdhsa_fp16_overflow 0
		.amdhsa_workgroup_processor_mode 1
		.amdhsa_memory_ordered 1
		.amdhsa_forward_progress 1
		.amdhsa_inst_pref_size 13
		.amdhsa_round_robin_scheduling 0
		.amdhsa_exception_fp_ieee_invalid_op 0
		.amdhsa_exception_fp_denorm_src 0
		.amdhsa_exception_fp_ieee_div_zero 0
		.amdhsa_exception_fp_ieee_overflow 0
		.amdhsa_exception_fp_ieee_underflow 0
		.amdhsa_exception_fp_ieee_inexact 0
		.amdhsa_exception_int_div_zero 0
	.end_amdhsa_kernel
	.section	.text._ZN9rocsparseL22bsrxmvn_general_kernelILj256ELj16E21rocsparse_complex_numIdEiidS2_S2_EEv20rocsparse_direction_NS_24const_host_device_scalarIT1_EET3_PKS7_PKT2_SC_S9_PKT4_S7_PKT5_S6_PT6_21rocsparse_index_base_b,"axG",@progbits,_ZN9rocsparseL22bsrxmvn_general_kernelILj256ELj16E21rocsparse_complex_numIdEiidS2_S2_EEv20rocsparse_direction_NS_24const_host_device_scalarIT1_EET3_PKS7_PKT2_SC_S9_PKT4_S7_PKT5_S6_PT6_21rocsparse_index_base_b,comdat
.Lfunc_end91:
	.size	_ZN9rocsparseL22bsrxmvn_general_kernelILj256ELj16E21rocsparse_complex_numIdEiidS2_S2_EEv20rocsparse_direction_NS_24const_host_device_scalarIT1_EET3_PKS7_PKT2_SC_S9_PKT4_S7_PKT5_S6_PT6_21rocsparse_index_base_b, .Lfunc_end91-_ZN9rocsparseL22bsrxmvn_general_kernelILj256ELj16E21rocsparse_complex_numIdEiidS2_S2_EEv20rocsparse_direction_NS_24const_host_device_scalarIT1_EET3_PKS7_PKT2_SC_S9_PKT4_S7_PKT5_S6_PT6_21rocsparse_index_base_b
                                        ; -- End function
	.set _ZN9rocsparseL22bsrxmvn_general_kernelILj256ELj16E21rocsparse_complex_numIdEiidS2_S2_EEv20rocsparse_direction_NS_24const_host_device_scalarIT1_EET3_PKS7_PKT2_SC_S9_PKT4_S7_PKT5_S6_PT6_21rocsparse_index_base_b.num_vgpr, 35
	.set _ZN9rocsparseL22bsrxmvn_general_kernelILj256ELj16E21rocsparse_complex_numIdEiidS2_S2_EEv20rocsparse_direction_NS_24const_host_device_scalarIT1_EET3_PKS7_PKT2_SC_S9_PKT4_S7_PKT5_S6_PT6_21rocsparse_index_base_b.num_agpr, 0
	.set _ZN9rocsparseL22bsrxmvn_general_kernelILj256ELj16E21rocsparse_complex_numIdEiidS2_S2_EEv20rocsparse_direction_NS_24const_host_device_scalarIT1_EET3_PKS7_PKT2_SC_S9_PKT4_S7_PKT5_S6_PT6_21rocsparse_index_base_b.numbered_sgpr, 30
	.set _ZN9rocsparseL22bsrxmvn_general_kernelILj256ELj16E21rocsparse_complex_numIdEiidS2_S2_EEv20rocsparse_direction_NS_24const_host_device_scalarIT1_EET3_PKS7_PKT2_SC_S9_PKT4_S7_PKT5_S6_PT6_21rocsparse_index_base_b.num_named_barrier, 0
	.set _ZN9rocsparseL22bsrxmvn_general_kernelILj256ELj16E21rocsparse_complex_numIdEiidS2_S2_EEv20rocsparse_direction_NS_24const_host_device_scalarIT1_EET3_PKS7_PKT2_SC_S9_PKT4_S7_PKT5_S6_PT6_21rocsparse_index_base_b.private_seg_size, 0
	.set _ZN9rocsparseL22bsrxmvn_general_kernelILj256ELj16E21rocsparse_complex_numIdEiidS2_S2_EEv20rocsparse_direction_NS_24const_host_device_scalarIT1_EET3_PKS7_PKT2_SC_S9_PKT4_S7_PKT5_S6_PT6_21rocsparse_index_base_b.uses_vcc, 1
	.set _ZN9rocsparseL22bsrxmvn_general_kernelILj256ELj16E21rocsparse_complex_numIdEiidS2_S2_EEv20rocsparse_direction_NS_24const_host_device_scalarIT1_EET3_PKS7_PKT2_SC_S9_PKT4_S7_PKT5_S6_PT6_21rocsparse_index_base_b.uses_flat_scratch, 0
	.set _ZN9rocsparseL22bsrxmvn_general_kernelILj256ELj16E21rocsparse_complex_numIdEiidS2_S2_EEv20rocsparse_direction_NS_24const_host_device_scalarIT1_EET3_PKS7_PKT2_SC_S9_PKT4_S7_PKT5_S6_PT6_21rocsparse_index_base_b.has_dyn_sized_stack, 0
	.set _ZN9rocsparseL22bsrxmvn_general_kernelILj256ELj16E21rocsparse_complex_numIdEiidS2_S2_EEv20rocsparse_direction_NS_24const_host_device_scalarIT1_EET3_PKS7_PKT2_SC_S9_PKT4_S7_PKT5_S6_PT6_21rocsparse_index_base_b.has_recursion, 0
	.set _ZN9rocsparseL22bsrxmvn_general_kernelILj256ELj16E21rocsparse_complex_numIdEiidS2_S2_EEv20rocsparse_direction_NS_24const_host_device_scalarIT1_EET3_PKS7_PKT2_SC_S9_PKT4_S7_PKT5_S6_PT6_21rocsparse_index_base_b.has_indirect_call, 0
	.section	.AMDGPU.csdata,"",@progbits
; Kernel info:
; codeLenInByte = 1588
; TotalNumSgprs: 32
; NumVgprs: 35
; ScratchSize: 0
; MemoryBound: 0
; FloatMode: 240
; IeeeMode: 1
; LDSByteSize: 0 bytes/workgroup (compile time only)
; SGPRBlocks: 0
; VGPRBlocks: 4
; NumSGPRsForWavesPerEU: 32
; NumVGPRsForWavesPerEU: 35
; Occupancy: 16
; WaveLimiterHint : 1
; COMPUTE_PGM_RSRC2:SCRATCH_EN: 0
; COMPUTE_PGM_RSRC2:USER_SGPR: 2
; COMPUTE_PGM_RSRC2:TRAP_HANDLER: 0
; COMPUTE_PGM_RSRC2:TGID_X_EN: 1
; COMPUTE_PGM_RSRC2:TGID_Y_EN: 0
; COMPUTE_PGM_RSRC2:TGID_Z_EN: 0
; COMPUTE_PGM_RSRC2:TIDIG_COMP_CNT: 0
	.section	.text._ZN9rocsparseL22bsrxmvn_general_kernelILj1024ELj32E21rocsparse_complex_numIdEiidS2_S2_EEv20rocsparse_direction_NS_24const_host_device_scalarIT1_EET3_PKS7_PKT2_SC_S9_PKT4_S7_PKT5_S6_PT6_21rocsparse_index_base_b,"axG",@progbits,_ZN9rocsparseL22bsrxmvn_general_kernelILj1024ELj32E21rocsparse_complex_numIdEiidS2_S2_EEv20rocsparse_direction_NS_24const_host_device_scalarIT1_EET3_PKS7_PKT2_SC_S9_PKT4_S7_PKT5_S6_PT6_21rocsparse_index_base_b,comdat
	.globl	_ZN9rocsparseL22bsrxmvn_general_kernelILj1024ELj32E21rocsparse_complex_numIdEiidS2_S2_EEv20rocsparse_direction_NS_24const_host_device_scalarIT1_EET3_PKS7_PKT2_SC_S9_PKT4_S7_PKT5_S6_PT6_21rocsparse_index_base_b ; -- Begin function _ZN9rocsparseL22bsrxmvn_general_kernelILj1024ELj32E21rocsparse_complex_numIdEiidS2_S2_EEv20rocsparse_direction_NS_24const_host_device_scalarIT1_EET3_PKS7_PKT2_SC_S9_PKT4_S7_PKT5_S6_PT6_21rocsparse_index_base_b
	.p2align	8
	.type	_ZN9rocsparseL22bsrxmvn_general_kernelILj1024ELj32E21rocsparse_complex_numIdEiidS2_S2_EEv20rocsparse_direction_NS_24const_host_device_scalarIT1_EET3_PKS7_PKT2_SC_S9_PKT4_S7_PKT5_S6_PT6_21rocsparse_index_base_b,@function
_ZN9rocsparseL22bsrxmvn_general_kernelILj1024ELj32E21rocsparse_complex_numIdEiidS2_S2_EEv20rocsparse_direction_NS_24const_host_device_scalarIT1_EET3_PKS7_PKT2_SC_S9_PKT4_S7_PKT5_S6_PT6_21rocsparse_index_base_b: ; @_ZN9rocsparseL22bsrxmvn_general_kernelILj1024ELj32E21rocsparse_complex_numIdEiidS2_S2_EEv20rocsparse_direction_NS_24const_host_device_scalarIT1_EET3_PKS7_PKT2_SC_S9_PKT4_S7_PKT5_S6_PT6_21rocsparse_index_base_b
; %bb.0:
	s_clause 0x1
	s_load_b64 s[12:13], s[0:1], 0x70
	s_load_b64 s[2:3], s[0:1], 0x8
	s_add_nc_u64 s[4:5], s[0:1], 8
	s_load_b64 s[6:7], s[0:1], 0x58
	s_wait_kmcnt 0x0
	s_bitcmp1_b32 s13, 0
	s_cselect_b32 s2, s4, s2
	s_cselect_b32 s3, s5, s3
	s_delay_alu instid0(SALU_CYCLE_1)
	v_dual_mov_b32 v1, s2 :: v_dual_mov_b32 v2, s3
	s_add_nc_u64 s[2:3], s[0:1], 0x58
	s_wait_alu 0xfffe
	s_cselect_b32 s2, s2, s6
	s_cselect_b32 s3, s3, s7
	flat_load_b128 v[1:4], v[1:2]
	s_wait_alu 0xfffe
	v_dual_mov_b32 v5, s2 :: v_dual_mov_b32 v6, s3
	flat_load_b128 v[5:8], v[5:6]
	s_wait_loadcnt_dscnt 0x101
	v_cmp_eq_f64_e32 vcc_lo, 0, v[1:2]
	v_cmp_eq_f64_e64 s2, 0, v[3:4]
	s_and_b32 s4, vcc_lo, s2
	s_mov_b32 s2, -1
	s_and_saveexec_b32 s3, s4
	s_cbranch_execz .LBB92_2
; %bb.1:
	s_wait_loadcnt_dscnt 0x0
	v_cmp_neq_f64_e32 vcc_lo, 1.0, v[5:6]
	v_cmp_neq_f64_e64 s2, 0, v[7:8]
	s_wait_alu 0xfffe
	s_or_b32 s2, vcc_lo, s2
	s_wait_alu 0xfffe
	s_or_not1_b32 s2, s2, exec_lo
.LBB92_2:
	s_wait_alu 0xfffe
	s_or_b32 exec_lo, exec_lo, s3
	s_and_saveexec_b32 s3, s2
	s_cbranch_execz .LBB92_25
; %bb.3:
	s_load_b64 s[2:3], s[0:1], 0x20
	s_wait_kmcnt 0x0
	s_cmp_eq_u64 s[2:3], 0
	s_cbranch_scc1 .LBB92_5
; %bb.4:
	s_mov_b32 s4, ttmp9
	s_ashr_i32 s5, ttmp9, 31
	s_delay_alu instid0(SALU_CYCLE_1) | instskip(NEXT) | instid1(SALU_CYCLE_1)
	s_lshl_b64 s[4:5], s[4:5], 2
	s_add_nc_u64 s[2:3], s[2:3], s[4:5]
	s_load_b32 s2, s[2:3], 0x0
	s_wait_kmcnt 0x0
	s_sub_co_i32 s18, s2, s12
	s_branch .LBB92_6
.LBB92_5:
	s_mov_b32 s18, ttmp9
.LBB92_6:
	s_load_b32 s14, s[0:1], 0x48
	v_lshrrev_b32_e32 v13, 5, v0
	s_wait_kmcnt 0x0
	s_delay_alu instid0(VALU_DEP_1)
	v_cmp_gt_i32_e32 vcc_lo, s14, v13
	s_and_b32 exec_lo, exec_lo, vcc_lo
	s_cbranch_execz .LBB92_25
; %bb.7:
	s_load_b256 s[4:11], s[0:1], 0x28
	s_ashr_i32 s19, s18, 31
	v_mbcnt_lo_u32_b32 v9, -1, 0
	s_lshl_b64 s[20:21], s[18:19], 2
	s_wait_loadcnt_dscnt 0x0
	v_cmp_eq_f64_e32 vcc_lo, 0, v[5:6]
	v_cmp_eq_f64_e64 s2, 0, v[7:8]
	s_load_b32 s27, s[0:1], 0x0
	v_xor_b32_e32 v10, 16, v9
	v_xor_b32_e32 v11, 8, v9
	;; [unrolled: 1-line block ×5, first 2 shown]
	v_cmp_gt_i32_e64 s3, 32, v10
	v_dual_mov_b32 v14, 0 :: v_dual_and_b32 v15, 31, v0
	v_mul_lo_u32 v0, s14, v13
	s_mov_b32 s15, 0
	s_wait_alu 0xf1ff
	v_cndmask_b32_e64 v10, v9, v10, s3
	v_cmp_gt_i32_e64 s3, 32, v11
	v_mul_lo_u32 v23, s14, v15
	s_wait_kmcnt 0x0
	s_add_nc_u64 s[22:23], s[4:5], s[20:21]
	s_add_nc_u64 s[24:25], s[6:7], s[20:21]
	s_load_b32 s26, s[22:23], 0x0
	s_clause 0x1
	s_load_b64 s[4:5], s[0:1], 0x68
	s_load_b64 s[16:17], s[0:1], 0x50
	s_add_nc_u64 s[22:23], s[22:23], 4
	v_cndmask_b32_e64 v11, v9, v11, s3
	v_cmp_gt_i32_e64 s3, 32, v12
	v_cmp_gt_u32_e64 s0, s14, v15
	v_cmp_eq_u32_e64 s1, 31, v15
	s_delay_alu instid0(VALU_DEP_4)
	v_dual_mov_b32 v16, v14 :: v_dual_lshlrev_b32 v25, 2, v11
	s_wait_alu 0xf1ff
	v_cndmask_b32_e64 v12, v9, v12, s3
	v_cmp_gt_i32_e64 s3, 32, v17
	v_lshlrev_b32_e32 v24, 2, v10
	s_mul_i32 s13, s18, s14
	s_mul_u64 s[18:19], s[14:15], s[14:15]
	v_lshlrev_b32_e32 v26, 2, v12
	v_cndmask_b32_e64 v17, v9, v17, s3
	v_cmp_gt_i32_e64 s3, 32, v18
	s_wait_kmcnt 0x0
	s_sub_co_i32 s20, s26, s12
	s_cmp_eq_u64 s[6:7], 0
	s_wait_alu 0xf1ff
	v_cndmask_b32_e64 v9, v9, v18, s3
	s_cselect_b32 s7, s23, s25
	s_cselect_b32 s6, s22, s24
	v_lshlrev_b32_e32 v27, 2, v17
	s_load_b32 s6, s[6:7], 0x0
	v_lshlrev_b32_e32 v28, 2, v9
	s_wait_kmcnt 0x0
	s_sub_co_i32 s22, s6, s12
	s_cmp_lt_i32 s26, s6
	s_cselect_b32 s23, -1, 0
	s_cmp_lg_u32 s27, 0
	s_cselect_b32 s24, -1, 0
	s_ashr_i32 s21, s20, 31
	s_and_b32 s25, vcc_lo, s2
	s_mul_u64 s[2:3], s[20:21], s[18:19]
	s_lshl_b32 s21, s14, 5
	s_branch .LBB92_9
.LBB92_8:                               ;   in Loop: Header=BB92_9 Depth=1
	s_wait_alu 0xfffe
	s_or_b32 exec_lo, exec_lo, s6
	v_add_nc_u32_e32 v13, 32, v13
	v_add_nc_u32_e32 v0, s21, v0
	s_delay_alu instid0(VALU_DEP_2)
	v_cmp_le_i32_e32 vcc_lo, s14, v13
	s_or_b32 s15, vcc_lo, s15
	s_wait_alu 0xfffe
	s_and_not1_b32 exec_lo, exec_lo, s15
	s_cbranch_execz .LBB92_25
.LBB92_9:                               ; =>This Loop Header: Depth=1
                                        ;     Child Loop BB92_13 Depth 2
                                        ;       Child Loop BB92_16 Depth 3
	v_mov_b32_e32 v9, 0
	v_dual_mov_b32 v10, 0 :: v_dual_mov_b32 v11, 0
	v_mov_b32_e32 v12, 0
	s_and_not1_b32 vcc_lo, exec_lo, s23
	s_wait_alu 0xfffe
	s_cbranch_vccnz .LBB92_20
; %bb.10:                               ;   in Loop: Header=BB92_9 Depth=1
	s_wait_dscnt 0x3
	v_ashrrev_i32_e32 v17, 31, v0
	v_mov_b32_e32 v9, 0
	v_add_co_u32 v29, vcc_lo, s2, v0
	v_dual_mov_b32 v10, 0 :: v_dual_mov_b32 v11, 0
	v_mov_b32_e32 v12, 0
	s_wait_alu 0xfffd
	v_add_co_ci_u32_e64 v30, null, s3, v17, vcc_lo
	s_mov_b32 s6, s20
	s_branch .LBB92_13
.LBB92_11:                              ;   in Loop: Header=BB92_13 Depth=2
	s_or_b32 exec_lo, exec_lo, s7
.LBB92_12:                              ;   in Loop: Header=BB92_13 Depth=2
	s_wait_alu 0xfffe
	s_or_b32 exec_lo, exec_lo, s26
	v_add_co_u32 v29, vcc_lo, v29, s18
	s_wait_alu 0xfffd
	v_add_co_ci_u32_e64 v30, null, s19, v30, vcc_lo
	s_add_co_i32 s6, s6, 1
	s_wait_alu 0xfffe
	s_cmp_ge_i32 s6, s22
	s_cbranch_scc1 .LBB92_20
.LBB92_13:                              ;   Parent Loop BB92_9 Depth=1
                                        ; =>  This Loop Header: Depth=2
                                        ;       Child Loop BB92_16 Depth 3
	s_and_saveexec_b32 s26, s0
	s_cbranch_execz .LBB92_12
; %bb.14:                               ;   in Loop: Header=BB92_13 Depth=2
	s_wait_alu 0xfffe
	s_ashr_i32 s7, s6, 31
	s_wait_dscnt 0x2
	v_mad_co_u64_u32 v[17:18], null, s18, s6, v[13:14]
	s_wait_alu 0xfffe
	s_lshl_b64 s[28:29], s[6:7], 2
	s_mul_i32 s7, s18, s7
	s_wait_alu 0xfffe
	s_add_nc_u64 s[28:29], s[8:9], s[28:29]
	s_wait_dscnt 0x0
	v_dual_mov_b32 v31, v23 :: v_dual_mov_b32 v20, v16
	s_load_b32 s27, s[28:29], 0x0
	s_mul_i32 s28, s19, s6
	v_mov_b32_e32 v19, v15
	s_wait_alu 0xfffe
	v_add3_u32 v18, s7, s28, v18
	s_wait_kmcnt 0x0
	s_sub_co_i32 s7, s27, s12
	s_wait_alu 0xfffe
	s_mul_i32 s27, s7, s14
	s_mov_b32 s7, 0
	s_branch .LBB92_16
.LBB92_15:                              ;   in Loop: Header=BB92_16 Depth=3
	v_add_nc_u32_e32 v32, s27, v19
	s_delay_alu instid0(VALU_DEP_2) | instskip(SKIP_1) | instid1(VALU_DEP_3)
	v_lshlrev_b64_e32 v[21:22], 3, v[21:22]
	v_add_nc_u32_e32 v31, s21, v31
	v_ashrrev_i32_e32 v33, 31, v32
	s_delay_alu instid0(VALU_DEP_3) | instskip(SKIP_1) | instid1(VALU_DEP_4)
	v_add_co_u32 v21, vcc_lo, s10, v21
	s_wait_alu 0xfffd
	v_add_co_ci_u32_e64 v22, null, s11, v22, vcc_lo
	s_delay_alu instid0(VALU_DEP_3) | instskip(NEXT) | instid1(VALU_DEP_1)
	v_lshlrev_b64_e32 v[32:33], 4, v[32:33]
	v_add_co_u32 v32, vcc_lo, s16, v32
	s_wait_alu 0xfffd
	s_delay_alu instid0(VALU_DEP_2)
	v_add_co_ci_u32_e64 v33, null, s17, v33, vcc_lo
	v_add_co_u32 v19, vcc_lo, v19, 32
	global_load_b64 v[21:22], v[21:22], off
	global_load_b128 v[32:35], v[32:33], off
	s_wait_alu 0xfffd
	v_add_co_ci_u32_e64 v20, null, 0, v20, vcc_lo
	v_cmp_le_i32_e32 vcc_lo, s14, v19
	s_or_b32 s7, vcc_lo, s7
	s_wait_loadcnt 0x0
	v_fma_f64 v[11:12], v[21:22], v[32:33], v[11:12]
	v_fma_f64 v[9:10], v[32:33], 0, v[9:10]
	s_delay_alu instid0(VALU_DEP_2) | instskip(NEXT) | instid1(VALU_DEP_2)
	v_fma_f64 v[11:12], 0x80000000, v[34:35], v[11:12]
	v_fma_f64 v[9:10], v[21:22], v[34:35], v[9:10]
	s_wait_alu 0xfffe
	s_and_not1_b32 exec_lo, exec_lo, s7
	s_cbranch_execz .LBB92_11
.LBB92_16:                              ;   Parent Loop BB92_9 Depth=1
                                        ;     Parent Loop BB92_13 Depth=2
                                        ; =>    This Inner Loop Header: Depth=3
	s_and_b32 vcc_lo, exec_lo, s24
	s_wait_alu 0xfffe
	s_cbranch_vccz .LBB92_18
; %bb.17:                               ;   in Loop: Header=BB92_16 Depth=3
	v_ashrrev_i32_e32 v22, 31, v31
	v_add_co_u32 v21, vcc_lo, v17, v31
	s_wait_alu 0xfffd
	s_delay_alu instid0(VALU_DEP_2)
	v_add_co_ci_u32_e64 v22, null, v18, v22, vcc_lo
	s_cbranch_execnz .LBB92_15
	s_branch .LBB92_19
.LBB92_18:                              ;   in Loop: Header=BB92_16 Depth=3
                                        ; implicit-def: $vgpr21_vgpr22
.LBB92_19:                              ;   in Loop: Header=BB92_16 Depth=3
	v_add_co_u32 v21, vcc_lo, v29, v19
	s_wait_alu 0xfffd
	v_add_co_ci_u32_e64 v22, null, v30, v20, vcc_lo
	s_branch .LBB92_15
.LBB92_20:                              ;   in Loop: Header=BB92_9 Depth=1
	s_wait_dscnt 0x3
	ds_bpermute_b32 v17, v24, v11
	s_wait_dscnt 0x3
	ds_bpermute_b32 v18, v24, v12
	s_wait_dscnt 0x3
	ds_bpermute_b32 v19, v24, v9
	s_wait_dscnt 0x3
	ds_bpermute_b32 v20, v24, v10
	s_wait_dscnt 0x2
	v_add_f64_e32 v[11:12], v[11:12], v[17:18]
	s_wait_dscnt 0x0
	v_add_f64_e32 v[9:10], v[9:10], v[19:20]
	ds_bpermute_b32 v17, v25, v11
	ds_bpermute_b32 v18, v25, v12
	ds_bpermute_b32 v19, v25, v9
	ds_bpermute_b32 v20, v25, v10
	s_wait_dscnt 0x2
	v_add_f64_e32 v[11:12], v[11:12], v[17:18]
	s_wait_dscnt 0x0
	v_add_f64_e32 v[9:10], v[9:10], v[19:20]
	ds_bpermute_b32 v17, v26, v11
	ds_bpermute_b32 v18, v26, v12
	ds_bpermute_b32 v19, v26, v9
	ds_bpermute_b32 v20, v26, v10
	;; [unrolled: 8-line block ×4, first 2 shown]
	s_and_saveexec_b32 s6, s1
	s_cbranch_execz .LBB92_8
; %bb.21:                               ;   in Loop: Header=BB92_9 Depth=1
	s_wait_dscnt 0x0
	v_add_f64_e32 v[11:12], v[11:12], v[19:20]
	v_add_f64_e32 v[17:18], v[9:10], v[17:18]
	s_delay_alu instid0(VALU_DEP_2) | instskip(SKIP_1) | instid1(VALU_DEP_2)
	v_mul_f64_e64 v[9:10], v[11:12], -v[3:4]
	v_mul_f64_e32 v[11:12], v[1:2], v[11:12]
	v_fma_f64 v[9:10], v[1:2], v[17:18], v[9:10]
	s_delay_alu instid0(VALU_DEP_2) | instskip(SKIP_1) | instid1(VALU_DEP_1)
	v_fma_f64 v[11:12], v[3:4], v[17:18], v[11:12]
	v_add_nc_u32_e32 v17, s13, v13
	v_ashrrev_i32_e32 v18, 31, v17
	s_and_saveexec_b32 s7, s25
	s_wait_alu 0xfffe
	s_xor_b32 s7, exec_lo, s7
	s_cbranch_execz .LBB92_23
; %bb.22:                               ;   in Loop: Header=BB92_9 Depth=1
	v_lshlrev_b64_e32 v[17:18], 4, v[17:18]
	s_delay_alu instid0(VALU_DEP_1) | instskip(SKIP_1) | instid1(VALU_DEP_2)
	v_add_co_u32 v17, vcc_lo, s4, v17
	s_wait_alu 0xfffd
	v_add_co_ci_u32_e64 v18, null, s5, v18, vcc_lo
	global_store_b128 v[17:18], v[9:12], off
                                        ; implicit-def: $vgpr17
                                        ; implicit-def: $vgpr9_vgpr10
.LBB92_23:                              ;   in Loop: Header=BB92_9 Depth=1
	s_wait_alu 0xfffe
	s_and_not1_saveexec_b32 s7, s7
	s_cbranch_execz .LBB92_8
; %bb.24:                               ;   in Loop: Header=BB92_9 Depth=1
	v_lshlrev_b64_e32 v[17:18], 4, v[17:18]
	s_delay_alu instid0(VALU_DEP_1) | instskip(SKIP_1) | instid1(VALU_DEP_2)
	v_add_co_u32 v21, vcc_lo, s4, v17
	s_wait_alu 0xfffd
	v_add_co_ci_u32_e64 v22, null, s5, v18, vcc_lo
	global_load_b128 v[17:20], v[21:22], off
	s_wait_loadcnt 0x0
	v_fma_f64 v[9:10], v[5:6], v[17:18], v[9:10]
	v_fma_f64 v[11:12], v[7:8], v[17:18], v[11:12]
	s_delay_alu instid0(VALU_DEP_2) | instskip(NEXT) | instid1(VALU_DEP_2)
	v_fma_f64 v[9:10], -v[7:8], v[19:20], v[9:10]
	v_fma_f64 v[11:12], v[5:6], v[19:20], v[11:12]
	global_store_b128 v[21:22], v[9:12], off
	s_branch .LBB92_8
.LBB92_25:
	s_endpgm
	.section	.rodata,"a",@progbits
	.p2align	6, 0x0
	.amdhsa_kernel _ZN9rocsparseL22bsrxmvn_general_kernelILj1024ELj32E21rocsparse_complex_numIdEiidS2_S2_EEv20rocsparse_direction_NS_24const_host_device_scalarIT1_EET3_PKS7_PKT2_SC_S9_PKT4_S7_PKT5_S6_PT6_21rocsparse_index_base_b
		.amdhsa_group_segment_fixed_size 0
		.amdhsa_private_segment_fixed_size 0
		.amdhsa_kernarg_size 120
		.amdhsa_user_sgpr_count 2
		.amdhsa_user_sgpr_dispatch_ptr 0
		.amdhsa_user_sgpr_queue_ptr 0
		.amdhsa_user_sgpr_kernarg_segment_ptr 1
		.amdhsa_user_sgpr_dispatch_id 0
		.amdhsa_user_sgpr_private_segment_size 0
		.amdhsa_wavefront_size32 1
		.amdhsa_uses_dynamic_stack 0
		.amdhsa_enable_private_segment 0
		.amdhsa_system_sgpr_workgroup_id_x 1
		.amdhsa_system_sgpr_workgroup_id_y 0
		.amdhsa_system_sgpr_workgroup_id_z 0
		.amdhsa_system_sgpr_workgroup_info 0
		.amdhsa_system_vgpr_workitem_id 0
		.amdhsa_next_free_vgpr 36
		.amdhsa_next_free_sgpr 30
		.amdhsa_reserve_vcc 1
		.amdhsa_float_round_mode_32 0
		.amdhsa_float_round_mode_16_64 0
		.amdhsa_float_denorm_mode_32 3
		.amdhsa_float_denorm_mode_16_64 3
		.amdhsa_fp16_overflow 0
		.amdhsa_workgroup_processor_mode 1
		.amdhsa_memory_ordered 1
		.amdhsa_forward_progress 1
		.amdhsa_inst_pref_size 13
		.amdhsa_round_robin_scheduling 0
		.amdhsa_exception_fp_ieee_invalid_op 0
		.amdhsa_exception_fp_denorm_src 0
		.amdhsa_exception_fp_ieee_div_zero 0
		.amdhsa_exception_fp_ieee_overflow 0
		.amdhsa_exception_fp_ieee_underflow 0
		.amdhsa_exception_fp_ieee_inexact 0
		.amdhsa_exception_int_div_zero 0
	.end_amdhsa_kernel
	.section	.text._ZN9rocsparseL22bsrxmvn_general_kernelILj1024ELj32E21rocsparse_complex_numIdEiidS2_S2_EEv20rocsparse_direction_NS_24const_host_device_scalarIT1_EET3_PKS7_PKT2_SC_S9_PKT4_S7_PKT5_S6_PT6_21rocsparse_index_base_b,"axG",@progbits,_ZN9rocsparseL22bsrxmvn_general_kernelILj1024ELj32E21rocsparse_complex_numIdEiidS2_S2_EEv20rocsparse_direction_NS_24const_host_device_scalarIT1_EET3_PKS7_PKT2_SC_S9_PKT4_S7_PKT5_S6_PT6_21rocsparse_index_base_b,comdat
.Lfunc_end92:
	.size	_ZN9rocsparseL22bsrxmvn_general_kernelILj1024ELj32E21rocsparse_complex_numIdEiidS2_S2_EEv20rocsparse_direction_NS_24const_host_device_scalarIT1_EET3_PKS7_PKT2_SC_S9_PKT4_S7_PKT5_S6_PT6_21rocsparse_index_base_b, .Lfunc_end92-_ZN9rocsparseL22bsrxmvn_general_kernelILj1024ELj32E21rocsparse_complex_numIdEiidS2_S2_EEv20rocsparse_direction_NS_24const_host_device_scalarIT1_EET3_PKS7_PKT2_SC_S9_PKT4_S7_PKT5_S6_PT6_21rocsparse_index_base_b
                                        ; -- End function
	.set _ZN9rocsparseL22bsrxmvn_general_kernelILj1024ELj32E21rocsparse_complex_numIdEiidS2_S2_EEv20rocsparse_direction_NS_24const_host_device_scalarIT1_EET3_PKS7_PKT2_SC_S9_PKT4_S7_PKT5_S6_PT6_21rocsparse_index_base_b.num_vgpr, 36
	.set _ZN9rocsparseL22bsrxmvn_general_kernelILj1024ELj32E21rocsparse_complex_numIdEiidS2_S2_EEv20rocsparse_direction_NS_24const_host_device_scalarIT1_EET3_PKS7_PKT2_SC_S9_PKT4_S7_PKT5_S6_PT6_21rocsparse_index_base_b.num_agpr, 0
	.set _ZN9rocsparseL22bsrxmvn_general_kernelILj1024ELj32E21rocsparse_complex_numIdEiidS2_S2_EEv20rocsparse_direction_NS_24const_host_device_scalarIT1_EET3_PKS7_PKT2_SC_S9_PKT4_S7_PKT5_S6_PT6_21rocsparse_index_base_b.numbered_sgpr, 30
	.set _ZN9rocsparseL22bsrxmvn_general_kernelILj1024ELj32E21rocsparse_complex_numIdEiidS2_S2_EEv20rocsparse_direction_NS_24const_host_device_scalarIT1_EET3_PKS7_PKT2_SC_S9_PKT4_S7_PKT5_S6_PT6_21rocsparse_index_base_b.num_named_barrier, 0
	.set _ZN9rocsparseL22bsrxmvn_general_kernelILj1024ELj32E21rocsparse_complex_numIdEiidS2_S2_EEv20rocsparse_direction_NS_24const_host_device_scalarIT1_EET3_PKS7_PKT2_SC_S9_PKT4_S7_PKT5_S6_PT6_21rocsparse_index_base_b.private_seg_size, 0
	.set _ZN9rocsparseL22bsrxmvn_general_kernelILj1024ELj32E21rocsparse_complex_numIdEiidS2_S2_EEv20rocsparse_direction_NS_24const_host_device_scalarIT1_EET3_PKS7_PKT2_SC_S9_PKT4_S7_PKT5_S6_PT6_21rocsparse_index_base_b.uses_vcc, 1
	.set _ZN9rocsparseL22bsrxmvn_general_kernelILj1024ELj32E21rocsparse_complex_numIdEiidS2_S2_EEv20rocsparse_direction_NS_24const_host_device_scalarIT1_EET3_PKS7_PKT2_SC_S9_PKT4_S7_PKT5_S6_PT6_21rocsparse_index_base_b.uses_flat_scratch, 0
	.set _ZN9rocsparseL22bsrxmvn_general_kernelILj1024ELj32E21rocsparse_complex_numIdEiidS2_S2_EEv20rocsparse_direction_NS_24const_host_device_scalarIT1_EET3_PKS7_PKT2_SC_S9_PKT4_S7_PKT5_S6_PT6_21rocsparse_index_base_b.has_dyn_sized_stack, 0
	.set _ZN9rocsparseL22bsrxmvn_general_kernelILj1024ELj32E21rocsparse_complex_numIdEiidS2_S2_EEv20rocsparse_direction_NS_24const_host_device_scalarIT1_EET3_PKS7_PKT2_SC_S9_PKT4_S7_PKT5_S6_PT6_21rocsparse_index_base_b.has_recursion, 0
	.set _ZN9rocsparseL22bsrxmvn_general_kernelILj1024ELj32E21rocsparse_complex_numIdEiidS2_S2_EEv20rocsparse_direction_NS_24const_host_device_scalarIT1_EET3_PKS7_PKT2_SC_S9_PKT4_S7_PKT5_S6_PT6_21rocsparse_index_base_b.has_indirect_call, 0
	.section	.AMDGPU.csdata,"",@progbits
; Kernel info:
; codeLenInByte = 1656
; TotalNumSgprs: 32
; NumVgprs: 36
; ScratchSize: 0
; MemoryBound: 0
; FloatMode: 240
; IeeeMode: 1
; LDSByteSize: 0 bytes/workgroup (compile time only)
; SGPRBlocks: 0
; VGPRBlocks: 4
; NumSGPRsForWavesPerEU: 32
; NumVGPRsForWavesPerEU: 36
; Occupancy: 16
; WaveLimiterHint : 1
; COMPUTE_PGM_RSRC2:SCRATCH_EN: 0
; COMPUTE_PGM_RSRC2:USER_SGPR: 2
; COMPUTE_PGM_RSRC2:TRAP_HANDLER: 0
; COMPUTE_PGM_RSRC2:TGID_X_EN: 1
; COMPUTE_PGM_RSRC2:TGID_Y_EN: 0
; COMPUTE_PGM_RSRC2:TGID_Z_EN: 0
; COMPUTE_PGM_RSRC2:TIDIG_COMP_CNT: 0
	.section	.text._ZN9rocsparseL22bsrxmvn_general_kernelILj64ELj8E21rocsparse_complex_numIdElidS2_S2_EEv20rocsparse_direction_NS_24const_host_device_scalarIT1_EET3_PKS7_PKT2_SC_S9_PKT4_S7_PKT5_S6_PT6_21rocsparse_index_base_b,"axG",@progbits,_ZN9rocsparseL22bsrxmvn_general_kernelILj64ELj8E21rocsparse_complex_numIdElidS2_S2_EEv20rocsparse_direction_NS_24const_host_device_scalarIT1_EET3_PKS7_PKT2_SC_S9_PKT4_S7_PKT5_S6_PT6_21rocsparse_index_base_b,comdat
	.globl	_ZN9rocsparseL22bsrxmvn_general_kernelILj64ELj8E21rocsparse_complex_numIdElidS2_S2_EEv20rocsparse_direction_NS_24const_host_device_scalarIT1_EET3_PKS7_PKT2_SC_S9_PKT4_S7_PKT5_S6_PT6_21rocsparse_index_base_b ; -- Begin function _ZN9rocsparseL22bsrxmvn_general_kernelILj64ELj8E21rocsparse_complex_numIdElidS2_S2_EEv20rocsparse_direction_NS_24const_host_device_scalarIT1_EET3_PKS7_PKT2_SC_S9_PKT4_S7_PKT5_S6_PT6_21rocsparse_index_base_b
	.p2align	8
	.type	_ZN9rocsparseL22bsrxmvn_general_kernelILj64ELj8E21rocsparse_complex_numIdElidS2_S2_EEv20rocsparse_direction_NS_24const_host_device_scalarIT1_EET3_PKS7_PKT2_SC_S9_PKT4_S7_PKT5_S6_PT6_21rocsparse_index_base_b,@function
_ZN9rocsparseL22bsrxmvn_general_kernelILj64ELj8E21rocsparse_complex_numIdElidS2_S2_EEv20rocsparse_direction_NS_24const_host_device_scalarIT1_EET3_PKS7_PKT2_SC_S9_PKT4_S7_PKT5_S6_PT6_21rocsparse_index_base_b: ; @_ZN9rocsparseL22bsrxmvn_general_kernelILj64ELj8E21rocsparse_complex_numIdElidS2_S2_EEv20rocsparse_direction_NS_24const_host_device_scalarIT1_EET3_PKS7_PKT2_SC_S9_PKT4_S7_PKT5_S6_PT6_21rocsparse_index_base_b
; %bb.0:
	s_clause 0x1
	s_load_b64 s[12:13], s[0:1], 0x70
	s_load_b64 s[2:3], s[0:1], 0x8
	s_add_nc_u64 s[4:5], s[0:1], 8
	s_load_b64 s[6:7], s[0:1], 0x58
	s_wait_kmcnt 0x0
	s_bitcmp1_b32 s13, 0
	s_cselect_b32 s2, s4, s2
	s_cselect_b32 s3, s5, s3
	s_delay_alu instid0(SALU_CYCLE_1)
	v_dual_mov_b32 v1, s2 :: v_dual_mov_b32 v2, s3
	s_add_nc_u64 s[2:3], s[0:1], 0x58
	s_wait_alu 0xfffe
	s_cselect_b32 s2, s2, s6
	s_cselect_b32 s3, s3, s7
	flat_load_b128 v[1:4], v[1:2]
	s_wait_alu 0xfffe
	v_dual_mov_b32 v5, s2 :: v_dual_mov_b32 v6, s3
	flat_load_b128 v[5:8], v[5:6]
	s_wait_loadcnt_dscnt 0x101
	v_cmp_eq_f64_e32 vcc_lo, 0, v[1:2]
	v_cmp_eq_f64_e64 s2, 0, v[3:4]
	s_and_b32 s4, vcc_lo, s2
	s_mov_b32 s2, -1
	s_and_saveexec_b32 s3, s4
	s_cbranch_execz .LBB93_2
; %bb.1:
	s_wait_loadcnt_dscnt 0x0
	v_cmp_neq_f64_e32 vcc_lo, 1.0, v[5:6]
	v_cmp_neq_f64_e64 s2, 0, v[7:8]
	s_wait_alu 0xfffe
	s_or_b32 s2, vcc_lo, s2
	s_wait_alu 0xfffe
	s_or_not1_b32 s2, s2, exec_lo
.LBB93_2:
	s_wait_alu 0xfffe
	s_or_b32 exec_lo, exec_lo, s3
	s_and_saveexec_b32 s3, s2
	s_cbranch_execz .LBB93_25
; %bb.3:
	s_load_b64 s[2:3], s[0:1], 0x20
	s_wait_kmcnt 0x0
	s_cmp_eq_u64 s[2:3], 0
	s_cbranch_scc1 .LBB93_5
; %bb.4:
	s_mov_b32 s4, ttmp9
	s_ashr_i32 s5, ttmp9, 31
	s_delay_alu instid0(SALU_CYCLE_1) | instskip(NEXT) | instid1(SALU_CYCLE_1)
	s_lshl_b64 s[4:5], s[4:5], 2
	s_add_nc_u64 s[2:3], s[2:3], s[4:5]
	s_load_b32 s2, s[2:3], 0x0
	s_wait_kmcnt 0x0
	s_sub_co_i32 s20, s2, s12
	s_branch .LBB93_6
.LBB93_5:
	s_mov_b32 s20, ttmp9
.LBB93_6:
	s_load_b32 s14, s[0:1], 0x48
	v_lshrrev_b32_e32 v13, 3, v0
	s_wait_kmcnt 0x0
	s_delay_alu instid0(VALU_DEP_1)
	v_cmp_gt_i32_e32 vcc_lo, s14, v13
	s_and_b32 exec_lo, exec_lo, vcc_lo
	s_cbranch_execz .LBB93_25
; %bb.7:
	s_load_b256 s[4:11], s[0:1], 0x28
	s_wait_loadcnt_dscnt 0x0
	v_cmp_eq_f64_e32 vcc_lo, 0, v[5:6]
	v_cmp_eq_f64_e64 s2, 0, v[7:8]
	s_ashr_i32 s21, s20, 31
	v_mbcnt_lo_u32_b32 v9, -1, 0
	s_clause 0x2
	s_load_b64 s[16:17], s[0:1], 0x68
	s_load_b64 s[18:19], s[0:1], 0x50
	s_load_b32 s24, s[0:1], 0x0
	s_lshl_b64 s[0:1], s[20:21], 3
	v_dual_mov_b32 v16, 0 :: v_dual_and_b32 v15, 7, v0
	v_xor_b32_e32 v10, 4, v9
	v_xor_b32_e32 v11, 2, v9
	;; [unrolled: 1-line block ×3, first 2 shown]
	s_mov_b32 s13, 0
	v_mul_lo_u32 v0, s14, v13
	v_cmp_gt_i32_e64 s3, 32, v10
	v_mul_lo_u32 v23, s14, v15
	s_mov_b32 s15, s13
	s_wait_alu 0xf1ff
	v_cndmask_b32_e64 v10, v9, v10, s3
	s_wait_kmcnt 0x0
	s_add_nc_u64 s[22:23], s[4:5], s[0:1]
	s_add_nc_u64 s[0:1], s[6:7], s[0:1]
	s_cmp_eq_u64 s[6:7], 0
	s_add_nc_u64 s[6:7], s[22:23], 8
	v_cmp_gt_i32_e64 s3, 32, v11
	s_cselect_b32 s1, s7, s1
	s_cselect_b32 s0, s6, s0
	s_load_b64 s[22:23], s[22:23], 0x0
	s_load_b64 s[26:27], s[0:1], 0x0
	s_cmp_lg_u32 s24, 0
	v_cndmask_b32_e64 v11, v9, v11, s3
	v_cmp_gt_i32_e64 s3, 32, v12
	v_cmp_gt_u32_e64 s0, s14, v15
	v_cmp_eq_u32_e64 s1, 7, v15
	v_lshlrev_b32_e32 v24, 2, v10
	v_lshlrev_b32_e32 v25, 2, v11
	s_wait_alu 0xf1ff
	v_cndmask_b32_e64 v9, v9, v12, s3
	s_mul_u64 s[4:5], s[14:15], s[14:15]
	s_cselect_b32 s15, -1, 0
	s_and_b32 s24, vcc_lo, s2
	s_delay_alu instid0(VALU_DEP_1)
	v_lshlrev_b32_e32 v26, 2, v9
	s_wait_kmcnt 0x0
	s_sub_nc_u64 s[2:3], s[22:23], s[12:13]
	v_cmp_lt_i64_e64 s25, s[22:23], s[26:27]
	s_sub_nc_u64 s[6:7], s[26:27], s[12:13]
	s_mul_i32 s26, s20, s14
	s_wait_alu 0xfffe
	s_mul_u64 s[20:21], s[2:3], s[4:5]
	s_lshl_b32 s27, s14, 3
	s_branch .LBB93_9
.LBB93_8:                               ;   in Loop: Header=BB93_9 Depth=1
	s_wait_alu 0xfffe
	s_or_b32 exec_lo, exec_lo, s22
	v_add_nc_u32_e32 v13, 8, v13
	v_add_nc_u32_e32 v0, s27, v0
	s_delay_alu instid0(VALU_DEP_2) | instskip(SKIP_1) | instid1(SALU_CYCLE_1)
	v_cmp_le_i32_e32 vcc_lo, s14, v13
	s_or_b32 s13, vcc_lo, s13
	s_and_not1_b32 exec_lo, exec_lo, s13
	s_cbranch_execz .LBB93_25
.LBB93_9:                               ; =>This Loop Header: Depth=1
                                        ;     Child Loop BB93_13 Depth 2
                                        ;       Child Loop BB93_16 Depth 3
	v_mov_b32_e32 v9, 0
	v_dual_mov_b32 v10, 0 :: v_dual_mov_b32 v11, 0
	v_mov_b32_e32 v12, 0
	s_and_not1_b32 vcc_lo, exec_lo, s25
	s_wait_alu 0xfffe
	s_cbranch_vccnz .LBB93_20
; %bb.10:                               ;   in Loop: Header=BB93_9 Depth=1
	v_ashrrev_i32_e32 v11, 31, v0
	v_add_co_u32 v27, vcc_lo, s20, v0
	v_mov_b32_e32 v9, 0
	v_mov_b32_e32 v10, 0
	s_wait_alu 0xfffd
	v_add_co_ci_u32_e64 v28, null, s21, v11, vcc_lo
	v_mov_b32_e32 v11, 0
	v_mov_b32_e32 v12, 0
	v_ashrrev_i32_e32 v14, 31, v13
	s_mov_b64 s[22:23], s[2:3]
	s_branch .LBB93_13
.LBB93_11:                              ;   in Loop: Header=BB93_13 Depth=2
	s_or_b32 exec_lo, exec_lo, s29
.LBB93_12:                              ;   in Loop: Header=BB93_13 Depth=2
	s_delay_alu instid0(SALU_CYCLE_1)
	s_or_b32 exec_lo, exec_lo, s28
	s_wait_alu 0xfffe
	s_add_nc_u64 s[22:23], s[22:23], 1
	v_add_co_u32 v27, vcc_lo, v27, s4
	s_wait_alu 0xfffe
	v_cmp_ge_i64_e64 s28, s[22:23], s[6:7]
	s_wait_alu 0xfffd
	v_add_co_ci_u32_e64 v28, null, s5, v28, vcc_lo
	s_and_b32 vcc_lo, exec_lo, s28
	s_wait_alu 0xfffe
	s_cbranch_vccnz .LBB93_20
.LBB93_13:                              ;   Parent Loop BB93_9 Depth=1
                                        ; =>  This Loop Header: Depth=2
                                        ;       Child Loop BB93_16 Depth 3
	s_and_saveexec_b32 s28, s0
	s_cbranch_execz .LBB93_12
; %bb.14:                               ;   in Loop: Header=BB93_13 Depth=2
	s_wait_alu 0xfffe
	s_lshl_b64 s[30:31], s[22:23], 2
	s_wait_dscnt 0x2
	v_mad_co_u64_u32 v[17:18], null, s4, s22, v[13:14]
	s_wait_alu 0xfffe
	s_add_nc_u64 s[30:31], s[8:9], s[30:31]
	s_wait_dscnt 0x0
	v_dual_mov_b32 v29, v23 :: v_dual_mov_b32 v20, v16
	s_load_b32 s29, s[30:31], 0x0
	s_mul_i32 s30, s5, s22
	s_mul_i32 s31, s4, s23
	v_mov_b32_e32 v19, v15
	s_wait_alu 0xfffe
	v_add3_u32 v18, s31, s30, v18
	s_wait_kmcnt 0x0
	s_sub_co_i32 s29, s29, s12
	s_delay_alu instid0(SALU_CYCLE_1)
	s_mul_i32 s30, s29, s14
	s_mov_b32 s29, 0
	s_branch .LBB93_16
.LBB93_15:                              ;   in Loop: Header=BB93_16 Depth=3
	v_add_nc_u32_e32 v30, s30, v19
	s_delay_alu instid0(VALU_DEP_2) | instskip(SKIP_1) | instid1(VALU_DEP_3)
	v_lshlrev_b64_e32 v[21:22], 3, v[21:22]
	v_add_nc_u32_e32 v29, s27, v29
	v_ashrrev_i32_e32 v31, 31, v30
	s_delay_alu instid0(VALU_DEP_3) | instskip(SKIP_1) | instid1(VALU_DEP_4)
	v_add_co_u32 v21, vcc_lo, s10, v21
	s_wait_alu 0xfffd
	v_add_co_ci_u32_e64 v22, null, s11, v22, vcc_lo
	s_delay_alu instid0(VALU_DEP_3) | instskip(NEXT) | instid1(VALU_DEP_1)
	v_lshlrev_b64_e32 v[30:31], 4, v[30:31]
	v_add_co_u32 v30, vcc_lo, s18, v30
	s_wait_alu 0xfffd
	s_delay_alu instid0(VALU_DEP_2)
	v_add_co_ci_u32_e64 v31, null, s19, v31, vcc_lo
	v_add_co_u32 v19, vcc_lo, v19, 8
	global_load_b64 v[21:22], v[21:22], off
	global_load_b128 v[30:33], v[30:31], off
	s_wait_alu 0xfffd
	v_add_co_ci_u32_e64 v20, null, 0, v20, vcc_lo
	v_cmp_le_i32_e32 vcc_lo, s14, v19
	s_or_b32 s29, vcc_lo, s29
	s_wait_loadcnt 0x0
	v_fma_f64 v[11:12], v[21:22], v[30:31], v[11:12]
	v_fma_f64 v[9:10], v[30:31], 0, v[9:10]
	s_delay_alu instid0(VALU_DEP_2) | instskip(NEXT) | instid1(VALU_DEP_2)
	v_fma_f64 v[11:12], 0x80000000, v[32:33], v[11:12]
	v_fma_f64 v[9:10], v[21:22], v[32:33], v[9:10]
	s_and_not1_b32 exec_lo, exec_lo, s29
	s_cbranch_execz .LBB93_11
.LBB93_16:                              ;   Parent Loop BB93_9 Depth=1
                                        ;     Parent Loop BB93_13 Depth=2
                                        ; =>    This Inner Loop Header: Depth=3
	s_and_b32 vcc_lo, exec_lo, s15
	s_wait_alu 0xfffe
	s_cbranch_vccz .LBB93_18
; %bb.17:                               ;   in Loop: Header=BB93_16 Depth=3
	v_ashrrev_i32_e32 v22, 31, v29
	v_add_co_u32 v21, vcc_lo, v17, v29
	s_wait_alu 0xfffd
	s_delay_alu instid0(VALU_DEP_2)
	v_add_co_ci_u32_e64 v22, null, v18, v22, vcc_lo
	s_cbranch_execnz .LBB93_15
	s_branch .LBB93_19
.LBB93_18:                              ;   in Loop: Header=BB93_16 Depth=3
                                        ; implicit-def: $vgpr21_vgpr22
.LBB93_19:                              ;   in Loop: Header=BB93_16 Depth=3
	v_add_co_u32 v21, vcc_lo, v27, v19
	s_wait_alu 0xfffd
	v_add_co_ci_u32_e64 v22, null, v28, v20, vcc_lo
	s_branch .LBB93_15
.LBB93_20:                              ;   in Loop: Header=BB93_9 Depth=1
	s_wait_dscnt 0x3
	ds_bpermute_b32 v17, v24, v11
	s_wait_dscnt 0x3
	ds_bpermute_b32 v18, v24, v12
	;; [unrolled: 2-line block ×4, first 2 shown]
	s_wait_dscnt 0x2
	v_add_f64_e32 v[11:12], v[11:12], v[17:18]
	s_wait_dscnt 0x0
	v_add_f64_e32 v[17:18], v[9:10], v[19:20]
	ds_bpermute_b32 v9, v25, v11
	ds_bpermute_b32 v10, v25, v12
	;; [unrolled: 1-line block ×4, first 2 shown]
	s_wait_dscnt 0x2
	v_add_f64_e32 v[9:10], v[11:12], v[9:10]
	s_wait_dscnt 0x0
	v_add_f64_e32 v[11:12], v[17:18], v[19:20]
	ds_bpermute_b32 v17, v26, v9
	ds_bpermute_b32 v18, v26, v10
	;; [unrolled: 1-line block ×4, first 2 shown]
	s_and_saveexec_b32 s22, s1
	s_cbranch_execz .LBB93_8
; %bb.21:                               ;   in Loop: Header=BB93_9 Depth=1
	s_wait_dscnt 0x0
	v_add_f64_e32 v[11:12], v[11:12], v[19:20]
	v_add_f64_e32 v[17:18], v[9:10], v[17:18]
	s_delay_alu instid0(VALU_DEP_2) | instskip(SKIP_1) | instid1(VALU_DEP_2)
	v_mul_f64_e64 v[9:10], v[11:12], -v[3:4]
	v_mul_f64_e32 v[11:12], v[1:2], v[11:12]
	v_fma_f64 v[9:10], v[1:2], v[17:18], v[9:10]
	s_delay_alu instid0(VALU_DEP_2) | instskip(SKIP_1) | instid1(VALU_DEP_1)
	v_fma_f64 v[11:12], v[3:4], v[17:18], v[11:12]
	v_add_nc_u32_e32 v17, s26, v13
	v_ashrrev_i32_e32 v18, 31, v17
	s_and_saveexec_b32 s23, s24
	s_wait_alu 0xfffe
	s_xor_b32 s23, exec_lo, s23
	s_cbranch_execz .LBB93_23
; %bb.22:                               ;   in Loop: Header=BB93_9 Depth=1
	v_lshlrev_b64_e32 v[17:18], 4, v[17:18]
	s_delay_alu instid0(VALU_DEP_1) | instskip(SKIP_1) | instid1(VALU_DEP_2)
	v_add_co_u32 v17, vcc_lo, s16, v17
	s_wait_alu 0xfffd
	v_add_co_ci_u32_e64 v18, null, s17, v18, vcc_lo
	global_store_b128 v[17:18], v[9:12], off
                                        ; implicit-def: $vgpr17
                                        ; implicit-def: $vgpr9_vgpr10
.LBB93_23:                              ;   in Loop: Header=BB93_9 Depth=1
	s_wait_alu 0xfffe
	s_and_not1_saveexec_b32 s23, s23
	s_cbranch_execz .LBB93_8
; %bb.24:                               ;   in Loop: Header=BB93_9 Depth=1
	v_lshlrev_b64_e32 v[17:18], 4, v[17:18]
	s_delay_alu instid0(VALU_DEP_1) | instskip(SKIP_1) | instid1(VALU_DEP_2)
	v_add_co_u32 v21, vcc_lo, s16, v17
	s_wait_alu 0xfffd
	v_add_co_ci_u32_e64 v22, null, s17, v18, vcc_lo
	global_load_b128 v[17:20], v[21:22], off
	s_wait_loadcnt 0x0
	v_fma_f64 v[9:10], v[5:6], v[17:18], v[9:10]
	v_fma_f64 v[11:12], v[7:8], v[17:18], v[11:12]
	s_delay_alu instid0(VALU_DEP_2) | instskip(NEXT) | instid1(VALU_DEP_2)
	v_fma_f64 v[9:10], -v[7:8], v[19:20], v[9:10]
	v_fma_f64 v[11:12], v[5:6], v[19:20], v[11:12]
	global_store_b128 v[21:22], v[9:12], off
	s_branch .LBB93_8
.LBB93_25:
	s_endpgm
	.section	.rodata,"a",@progbits
	.p2align	6, 0x0
	.amdhsa_kernel _ZN9rocsparseL22bsrxmvn_general_kernelILj64ELj8E21rocsparse_complex_numIdElidS2_S2_EEv20rocsparse_direction_NS_24const_host_device_scalarIT1_EET3_PKS7_PKT2_SC_S9_PKT4_S7_PKT5_S6_PT6_21rocsparse_index_base_b
		.amdhsa_group_segment_fixed_size 0
		.amdhsa_private_segment_fixed_size 0
		.amdhsa_kernarg_size 120
		.amdhsa_user_sgpr_count 2
		.amdhsa_user_sgpr_dispatch_ptr 0
		.amdhsa_user_sgpr_queue_ptr 0
		.amdhsa_user_sgpr_kernarg_segment_ptr 1
		.amdhsa_user_sgpr_dispatch_id 0
		.amdhsa_user_sgpr_private_segment_size 0
		.amdhsa_wavefront_size32 1
		.amdhsa_uses_dynamic_stack 0
		.amdhsa_enable_private_segment 0
		.amdhsa_system_sgpr_workgroup_id_x 1
		.amdhsa_system_sgpr_workgroup_id_y 0
		.amdhsa_system_sgpr_workgroup_id_z 0
		.amdhsa_system_sgpr_workgroup_info 0
		.amdhsa_system_vgpr_workitem_id 0
		.amdhsa_next_free_vgpr 34
		.amdhsa_next_free_sgpr 32
		.amdhsa_reserve_vcc 1
		.amdhsa_float_round_mode_32 0
		.amdhsa_float_round_mode_16_64 0
		.amdhsa_float_denorm_mode_32 3
		.amdhsa_float_denorm_mode_16_64 3
		.amdhsa_fp16_overflow 0
		.amdhsa_workgroup_processor_mode 1
		.amdhsa_memory_ordered 1
		.amdhsa_forward_progress 1
		.amdhsa_inst_pref_size 12
		.amdhsa_round_robin_scheduling 0
		.amdhsa_exception_fp_ieee_invalid_op 0
		.amdhsa_exception_fp_denorm_src 0
		.amdhsa_exception_fp_ieee_div_zero 0
		.amdhsa_exception_fp_ieee_overflow 0
		.amdhsa_exception_fp_ieee_underflow 0
		.amdhsa_exception_fp_ieee_inexact 0
		.amdhsa_exception_int_div_zero 0
	.end_amdhsa_kernel
	.section	.text._ZN9rocsparseL22bsrxmvn_general_kernelILj64ELj8E21rocsparse_complex_numIdElidS2_S2_EEv20rocsparse_direction_NS_24const_host_device_scalarIT1_EET3_PKS7_PKT2_SC_S9_PKT4_S7_PKT5_S6_PT6_21rocsparse_index_base_b,"axG",@progbits,_ZN9rocsparseL22bsrxmvn_general_kernelILj64ELj8E21rocsparse_complex_numIdElidS2_S2_EEv20rocsparse_direction_NS_24const_host_device_scalarIT1_EET3_PKS7_PKT2_SC_S9_PKT4_S7_PKT5_S6_PT6_21rocsparse_index_base_b,comdat
.Lfunc_end93:
	.size	_ZN9rocsparseL22bsrxmvn_general_kernelILj64ELj8E21rocsparse_complex_numIdElidS2_S2_EEv20rocsparse_direction_NS_24const_host_device_scalarIT1_EET3_PKS7_PKT2_SC_S9_PKT4_S7_PKT5_S6_PT6_21rocsparse_index_base_b, .Lfunc_end93-_ZN9rocsparseL22bsrxmvn_general_kernelILj64ELj8E21rocsparse_complex_numIdElidS2_S2_EEv20rocsparse_direction_NS_24const_host_device_scalarIT1_EET3_PKS7_PKT2_SC_S9_PKT4_S7_PKT5_S6_PT6_21rocsparse_index_base_b
                                        ; -- End function
	.set _ZN9rocsparseL22bsrxmvn_general_kernelILj64ELj8E21rocsparse_complex_numIdElidS2_S2_EEv20rocsparse_direction_NS_24const_host_device_scalarIT1_EET3_PKS7_PKT2_SC_S9_PKT4_S7_PKT5_S6_PT6_21rocsparse_index_base_b.num_vgpr, 34
	.set _ZN9rocsparseL22bsrxmvn_general_kernelILj64ELj8E21rocsparse_complex_numIdElidS2_S2_EEv20rocsparse_direction_NS_24const_host_device_scalarIT1_EET3_PKS7_PKT2_SC_S9_PKT4_S7_PKT5_S6_PT6_21rocsparse_index_base_b.num_agpr, 0
	.set _ZN9rocsparseL22bsrxmvn_general_kernelILj64ELj8E21rocsparse_complex_numIdElidS2_S2_EEv20rocsparse_direction_NS_24const_host_device_scalarIT1_EET3_PKS7_PKT2_SC_S9_PKT4_S7_PKT5_S6_PT6_21rocsparse_index_base_b.numbered_sgpr, 32
	.set _ZN9rocsparseL22bsrxmvn_general_kernelILj64ELj8E21rocsparse_complex_numIdElidS2_S2_EEv20rocsparse_direction_NS_24const_host_device_scalarIT1_EET3_PKS7_PKT2_SC_S9_PKT4_S7_PKT5_S6_PT6_21rocsparse_index_base_b.num_named_barrier, 0
	.set _ZN9rocsparseL22bsrxmvn_general_kernelILj64ELj8E21rocsparse_complex_numIdElidS2_S2_EEv20rocsparse_direction_NS_24const_host_device_scalarIT1_EET3_PKS7_PKT2_SC_S9_PKT4_S7_PKT5_S6_PT6_21rocsparse_index_base_b.private_seg_size, 0
	.set _ZN9rocsparseL22bsrxmvn_general_kernelILj64ELj8E21rocsparse_complex_numIdElidS2_S2_EEv20rocsparse_direction_NS_24const_host_device_scalarIT1_EET3_PKS7_PKT2_SC_S9_PKT4_S7_PKT5_S6_PT6_21rocsparse_index_base_b.uses_vcc, 1
	.set _ZN9rocsparseL22bsrxmvn_general_kernelILj64ELj8E21rocsparse_complex_numIdElidS2_S2_EEv20rocsparse_direction_NS_24const_host_device_scalarIT1_EET3_PKS7_PKT2_SC_S9_PKT4_S7_PKT5_S6_PT6_21rocsparse_index_base_b.uses_flat_scratch, 0
	.set _ZN9rocsparseL22bsrxmvn_general_kernelILj64ELj8E21rocsparse_complex_numIdElidS2_S2_EEv20rocsparse_direction_NS_24const_host_device_scalarIT1_EET3_PKS7_PKT2_SC_S9_PKT4_S7_PKT5_S6_PT6_21rocsparse_index_base_b.has_dyn_sized_stack, 0
	.set _ZN9rocsparseL22bsrxmvn_general_kernelILj64ELj8E21rocsparse_complex_numIdElidS2_S2_EEv20rocsparse_direction_NS_24const_host_device_scalarIT1_EET3_PKS7_PKT2_SC_S9_PKT4_S7_PKT5_S6_PT6_21rocsparse_index_base_b.has_recursion, 0
	.set _ZN9rocsparseL22bsrxmvn_general_kernelILj64ELj8E21rocsparse_complex_numIdElidS2_S2_EEv20rocsparse_direction_NS_24const_host_device_scalarIT1_EET3_PKS7_PKT2_SC_S9_PKT4_S7_PKT5_S6_PT6_21rocsparse_index_base_b.has_indirect_call, 0
	.section	.AMDGPU.csdata,"",@progbits
; Kernel info:
; codeLenInByte = 1504
; TotalNumSgprs: 34
; NumVgprs: 34
; ScratchSize: 0
; MemoryBound: 0
; FloatMode: 240
; IeeeMode: 1
; LDSByteSize: 0 bytes/workgroup (compile time only)
; SGPRBlocks: 0
; VGPRBlocks: 4
; NumSGPRsForWavesPerEU: 34
; NumVGPRsForWavesPerEU: 34
; Occupancy: 16
; WaveLimiterHint : 1
; COMPUTE_PGM_RSRC2:SCRATCH_EN: 0
; COMPUTE_PGM_RSRC2:USER_SGPR: 2
; COMPUTE_PGM_RSRC2:TRAP_HANDLER: 0
; COMPUTE_PGM_RSRC2:TGID_X_EN: 1
; COMPUTE_PGM_RSRC2:TGID_Y_EN: 0
; COMPUTE_PGM_RSRC2:TGID_Z_EN: 0
; COMPUTE_PGM_RSRC2:TIDIG_COMP_CNT: 0
	.section	.text._ZN9rocsparseL22bsrxmvn_general_kernelILj256ELj16E21rocsparse_complex_numIdElidS2_S2_EEv20rocsparse_direction_NS_24const_host_device_scalarIT1_EET3_PKS7_PKT2_SC_S9_PKT4_S7_PKT5_S6_PT6_21rocsparse_index_base_b,"axG",@progbits,_ZN9rocsparseL22bsrxmvn_general_kernelILj256ELj16E21rocsparse_complex_numIdElidS2_S2_EEv20rocsparse_direction_NS_24const_host_device_scalarIT1_EET3_PKS7_PKT2_SC_S9_PKT4_S7_PKT5_S6_PT6_21rocsparse_index_base_b,comdat
	.globl	_ZN9rocsparseL22bsrxmvn_general_kernelILj256ELj16E21rocsparse_complex_numIdElidS2_S2_EEv20rocsparse_direction_NS_24const_host_device_scalarIT1_EET3_PKS7_PKT2_SC_S9_PKT4_S7_PKT5_S6_PT6_21rocsparse_index_base_b ; -- Begin function _ZN9rocsparseL22bsrxmvn_general_kernelILj256ELj16E21rocsparse_complex_numIdElidS2_S2_EEv20rocsparse_direction_NS_24const_host_device_scalarIT1_EET3_PKS7_PKT2_SC_S9_PKT4_S7_PKT5_S6_PT6_21rocsparse_index_base_b
	.p2align	8
	.type	_ZN9rocsparseL22bsrxmvn_general_kernelILj256ELj16E21rocsparse_complex_numIdElidS2_S2_EEv20rocsparse_direction_NS_24const_host_device_scalarIT1_EET3_PKS7_PKT2_SC_S9_PKT4_S7_PKT5_S6_PT6_21rocsparse_index_base_b,@function
_ZN9rocsparseL22bsrxmvn_general_kernelILj256ELj16E21rocsparse_complex_numIdElidS2_S2_EEv20rocsparse_direction_NS_24const_host_device_scalarIT1_EET3_PKS7_PKT2_SC_S9_PKT4_S7_PKT5_S6_PT6_21rocsparse_index_base_b: ; @_ZN9rocsparseL22bsrxmvn_general_kernelILj256ELj16E21rocsparse_complex_numIdElidS2_S2_EEv20rocsparse_direction_NS_24const_host_device_scalarIT1_EET3_PKS7_PKT2_SC_S9_PKT4_S7_PKT5_S6_PT6_21rocsparse_index_base_b
; %bb.0:
	s_clause 0x1
	s_load_b64 s[12:13], s[0:1], 0x70
	s_load_b64 s[2:3], s[0:1], 0x8
	s_add_nc_u64 s[4:5], s[0:1], 8
	s_load_b64 s[6:7], s[0:1], 0x58
	s_wait_kmcnt 0x0
	s_bitcmp1_b32 s13, 0
	s_cselect_b32 s2, s4, s2
	s_cselect_b32 s3, s5, s3
	s_delay_alu instid0(SALU_CYCLE_1)
	v_dual_mov_b32 v1, s2 :: v_dual_mov_b32 v2, s3
	s_add_nc_u64 s[2:3], s[0:1], 0x58
	s_wait_alu 0xfffe
	s_cselect_b32 s2, s2, s6
	s_cselect_b32 s3, s3, s7
	flat_load_b128 v[1:4], v[1:2]
	s_wait_alu 0xfffe
	v_dual_mov_b32 v5, s2 :: v_dual_mov_b32 v6, s3
	flat_load_b128 v[5:8], v[5:6]
	s_wait_loadcnt_dscnt 0x101
	v_cmp_eq_f64_e32 vcc_lo, 0, v[1:2]
	v_cmp_eq_f64_e64 s2, 0, v[3:4]
	s_and_b32 s4, vcc_lo, s2
	s_mov_b32 s2, -1
	s_and_saveexec_b32 s3, s4
	s_cbranch_execz .LBB94_2
; %bb.1:
	s_wait_loadcnt_dscnt 0x0
	v_cmp_neq_f64_e32 vcc_lo, 1.0, v[5:6]
	v_cmp_neq_f64_e64 s2, 0, v[7:8]
	s_wait_alu 0xfffe
	s_or_b32 s2, vcc_lo, s2
	s_wait_alu 0xfffe
	s_or_not1_b32 s2, s2, exec_lo
.LBB94_2:
	s_wait_alu 0xfffe
	s_or_b32 exec_lo, exec_lo, s3
	s_and_saveexec_b32 s3, s2
	s_cbranch_execz .LBB94_25
; %bb.3:
	s_load_b64 s[2:3], s[0:1], 0x20
	s_wait_kmcnt 0x0
	s_cmp_eq_u64 s[2:3], 0
	s_cbranch_scc1 .LBB94_5
; %bb.4:
	s_mov_b32 s4, ttmp9
	s_ashr_i32 s5, ttmp9, 31
	s_delay_alu instid0(SALU_CYCLE_1) | instskip(NEXT) | instid1(SALU_CYCLE_1)
	s_lshl_b64 s[4:5], s[4:5], 2
	s_add_nc_u64 s[2:3], s[2:3], s[4:5]
	s_load_b32 s2, s[2:3], 0x0
	s_wait_kmcnt 0x0
	s_sub_co_i32 s22, s2, s12
	s_branch .LBB94_6
.LBB94_5:
	s_mov_b32 s22, ttmp9
.LBB94_6:
	s_load_b32 s14, s[0:1], 0x48
	v_lshrrev_b32_e32 v13, 4, v0
	s_wait_kmcnt 0x0
	s_delay_alu instid0(VALU_DEP_1)
	v_cmp_gt_i32_e32 vcc_lo, s14, v13
	s_and_b32 exec_lo, exec_lo, vcc_lo
	s_cbranch_execz .LBB94_25
; %bb.7:
	s_clause 0x2
	s_load_b256 s[4:11], s[0:1], 0x28
	s_load_b64 s[16:17], s[0:1], 0x68
	s_load_b64 s[18:19], s[0:1], 0x50
	s_wait_loadcnt_dscnt 0x0
	v_cmp_eq_f64_e32 vcc_lo, 0, v[5:6]
	v_cmp_eq_f64_e64 s2, 0, v[7:8]
	v_mbcnt_lo_u32_b32 v9, -1, 0
	s_ashr_i32 s23, s22, 31
	s_load_b32 s28, s[0:1], 0x0
	s_lshl_b64 s[24:25], s[22:23], 3
	v_dual_mov_b32 v16, 0 :: v_dual_and_b32 v15, 15, v0
	v_xor_b32_e32 v10, 8, v9
	v_xor_b32_e32 v11, 4, v9
	;; [unrolled: 1-line block ×4, first 2 shown]
	s_mov_b32 s13, 0
	v_cmp_gt_i32_e64 s3, 32, v10
	v_mul_lo_u32 v0, s14, v13
	v_mul_lo_u32 v23, s14, v15
	s_mov_b32 s15, s13
	s_wait_kmcnt 0x0
	s_add_nc_u64 s[4:5], s[4:5], s[24:25]
	s_add_nc_u64 s[24:25], s[6:7], s[24:25]
	s_cmp_eq_u64 s[6:7], 0
	s_add_nc_u64 s[6:7], s[4:5], 8
	s_wait_alu 0xf1ff
	v_cndmask_b32_e64 v10, v9, v10, s3
	s_cselect_b32 s7, s7, s25
	s_cselect_b32 s6, s6, s24
	s_load_b64 s[26:27], s[4:5], 0x0
	s_load_b64 s[6:7], s[6:7], 0x0
	v_cmp_gt_i32_e64 s3, 32, v11
	s_cmp_lg_u32 s28, 0
	v_cmp_gt_u32_e64 s0, s14, v15
	v_cmp_eq_u32_e64 s1, 15, v15
	v_lshlrev_b32_e32 v24, 2, v10
	s_wait_alu 0xf1ff
	v_cndmask_b32_e64 v11, v9, v11, s3
	v_cmp_gt_i32_e64 s3, 32, v12
	s_mul_u64 s[20:21], s[14:15], s[14:15]
	s_cselect_b32 s15, -1, 0
	v_lshlrev_b32_e32 v25, 2, v11
	v_cndmask_b32_e64 v12, v9, v12, s3
	v_cmp_gt_i32_e64 s3, 32, v14
	s_and_b32 s24, vcc_lo, s2
	v_lshlrev_b32_e32 v26, 2, v12
	v_cndmask_b32_e64 v9, v9, v14, s3
	s_wait_kmcnt 0x0
	s_sub_nc_u64 s[2:3], s[26:27], s[12:13]
	v_cmp_lt_i64_e64 s25, s[26:27], s[6:7]
	s_sub_nc_u64 s[4:5], s[6:7], s[12:13]
	s_mul_i32 s26, s22, s14
	v_lshlrev_b32_e32 v27, 2, v9
	s_wait_alu 0xfffe
	s_mul_u64 s[6:7], s[2:3], s[20:21]
	s_lshl_b32 s27, s14, 4
	s_branch .LBB94_9
.LBB94_8:                               ;   in Loop: Header=BB94_9 Depth=1
	s_wait_alu 0xfffe
	s_or_b32 exec_lo, exec_lo, s22
	v_add_nc_u32_e32 v13, 16, v13
	v_add_nc_u32_e32 v0, s27, v0
	s_delay_alu instid0(VALU_DEP_2) | instskip(SKIP_1) | instid1(SALU_CYCLE_1)
	v_cmp_le_i32_e32 vcc_lo, s14, v13
	s_or_b32 s13, vcc_lo, s13
	s_and_not1_b32 exec_lo, exec_lo, s13
	s_cbranch_execz .LBB94_25
.LBB94_9:                               ; =>This Loop Header: Depth=1
                                        ;     Child Loop BB94_13 Depth 2
                                        ;       Child Loop BB94_16 Depth 3
	v_mov_b32_e32 v9, 0
	v_dual_mov_b32 v10, 0 :: v_dual_mov_b32 v11, 0
	v_mov_b32_e32 v12, 0
	s_and_not1_b32 vcc_lo, exec_lo, s25
	s_wait_alu 0xfffe
	s_cbranch_vccnz .LBB94_20
; %bb.10:                               ;   in Loop: Header=BB94_9 Depth=1
	v_ashrrev_i32_e32 v11, 31, v0
	v_add_co_u32 v28, vcc_lo, s6, v0
	v_mov_b32_e32 v9, 0
	v_mov_b32_e32 v10, 0
	s_wait_alu 0xfffd
	v_add_co_ci_u32_e64 v29, null, s7, v11, vcc_lo
	v_mov_b32_e32 v11, 0
	v_mov_b32_e32 v12, 0
	v_ashrrev_i32_e32 v14, 31, v13
	s_mov_b64 s[22:23], s[2:3]
	s_branch .LBB94_13
.LBB94_11:                              ;   in Loop: Header=BB94_13 Depth=2
	s_or_b32 exec_lo, exec_lo, s29
.LBB94_12:                              ;   in Loop: Header=BB94_13 Depth=2
	s_delay_alu instid0(SALU_CYCLE_1)
	s_or_b32 exec_lo, exec_lo, s28
	s_wait_alu 0xfffe
	s_add_nc_u64 s[22:23], s[22:23], 1
	v_add_co_u32 v28, vcc_lo, v28, s20
	s_wait_alu 0xfffe
	v_cmp_ge_i64_e64 s28, s[22:23], s[4:5]
	s_wait_alu 0xfffd
	v_add_co_ci_u32_e64 v29, null, s21, v29, vcc_lo
	s_and_b32 vcc_lo, exec_lo, s28
	s_wait_alu 0xfffe
	s_cbranch_vccnz .LBB94_20
.LBB94_13:                              ;   Parent Loop BB94_9 Depth=1
                                        ; =>  This Loop Header: Depth=2
                                        ;       Child Loop BB94_16 Depth 3
	s_and_saveexec_b32 s28, s0
	s_cbranch_execz .LBB94_12
; %bb.14:                               ;   in Loop: Header=BB94_13 Depth=2
	s_wait_alu 0xfffe
	s_lshl_b64 s[30:31], s[22:23], 2
	s_wait_dscnt 0x2
	v_mad_co_u64_u32 v[17:18], null, s20, s22, v[13:14]
	s_wait_alu 0xfffe
	s_add_nc_u64 s[30:31], s[8:9], s[30:31]
	s_wait_dscnt 0x0
	v_mov_b32_e32 v20, v16
	s_load_b32 s29, s[30:31], 0x0
	s_mul_i32 s30, s21, s22
	s_mul_i32 s31, s20, s23
	v_dual_mov_b32 v30, v23 :: v_dual_mov_b32 v19, v15
	s_wait_alu 0xfffe
	v_add3_u32 v18, s31, s30, v18
	s_wait_kmcnt 0x0
	s_sub_co_i32 s29, s29, s12
	s_delay_alu instid0(SALU_CYCLE_1)
	s_mul_i32 s30, s29, s14
	s_mov_b32 s29, 0
	s_branch .LBB94_16
.LBB94_15:                              ;   in Loop: Header=BB94_16 Depth=3
	v_add_nc_u32_e32 v31, s30, v19
	s_delay_alu instid0(VALU_DEP_2) | instskip(SKIP_1) | instid1(VALU_DEP_3)
	v_lshlrev_b64_e32 v[21:22], 3, v[21:22]
	v_add_nc_u32_e32 v30, s27, v30
	v_ashrrev_i32_e32 v32, 31, v31
	s_delay_alu instid0(VALU_DEP_3) | instskip(SKIP_1) | instid1(VALU_DEP_4)
	v_add_co_u32 v21, vcc_lo, s10, v21
	s_wait_alu 0xfffd
	v_add_co_ci_u32_e64 v22, null, s11, v22, vcc_lo
	s_delay_alu instid0(VALU_DEP_3) | instskip(NEXT) | instid1(VALU_DEP_1)
	v_lshlrev_b64_e32 v[31:32], 4, v[31:32]
	v_add_co_u32 v31, vcc_lo, s18, v31
	s_wait_alu 0xfffd
	s_delay_alu instid0(VALU_DEP_2)
	v_add_co_ci_u32_e64 v32, null, s19, v32, vcc_lo
	v_add_co_u32 v19, vcc_lo, v19, 16
	global_load_b64 v[21:22], v[21:22], off
	global_load_b128 v[31:34], v[31:32], off
	s_wait_alu 0xfffd
	v_add_co_ci_u32_e64 v20, null, 0, v20, vcc_lo
	v_cmp_le_i32_e32 vcc_lo, s14, v19
	s_or_b32 s29, vcc_lo, s29
	s_wait_loadcnt 0x0
	v_fma_f64 v[11:12], v[21:22], v[31:32], v[11:12]
	v_fma_f64 v[9:10], v[31:32], 0, v[9:10]
	s_delay_alu instid0(VALU_DEP_2) | instskip(NEXT) | instid1(VALU_DEP_2)
	v_fma_f64 v[11:12], 0x80000000, v[33:34], v[11:12]
	v_fma_f64 v[9:10], v[21:22], v[33:34], v[9:10]
	s_and_not1_b32 exec_lo, exec_lo, s29
	s_cbranch_execz .LBB94_11
.LBB94_16:                              ;   Parent Loop BB94_9 Depth=1
                                        ;     Parent Loop BB94_13 Depth=2
                                        ; =>    This Inner Loop Header: Depth=3
	s_and_b32 vcc_lo, exec_lo, s15
	s_wait_alu 0xfffe
	s_cbranch_vccz .LBB94_18
; %bb.17:                               ;   in Loop: Header=BB94_16 Depth=3
	v_ashrrev_i32_e32 v22, 31, v30
	v_add_co_u32 v21, vcc_lo, v17, v30
	s_wait_alu 0xfffd
	s_delay_alu instid0(VALU_DEP_2)
	v_add_co_ci_u32_e64 v22, null, v18, v22, vcc_lo
	s_cbranch_execnz .LBB94_15
	s_branch .LBB94_19
.LBB94_18:                              ;   in Loop: Header=BB94_16 Depth=3
                                        ; implicit-def: $vgpr21_vgpr22
.LBB94_19:                              ;   in Loop: Header=BB94_16 Depth=3
	v_add_co_u32 v21, vcc_lo, v28, v19
	s_wait_alu 0xfffd
	v_add_co_ci_u32_e64 v22, null, v29, v20, vcc_lo
	s_branch .LBB94_15
.LBB94_20:                              ;   in Loop: Header=BB94_9 Depth=1
	s_wait_dscnt 0x3
	ds_bpermute_b32 v17, v24, v11
	s_wait_dscnt 0x3
	ds_bpermute_b32 v18, v24, v12
	;; [unrolled: 2-line block ×4, first 2 shown]
	s_wait_dscnt 0x2
	v_add_f64_e32 v[11:12], v[11:12], v[17:18]
	s_wait_dscnt 0x0
	v_add_f64_e32 v[9:10], v[9:10], v[19:20]
	ds_bpermute_b32 v17, v25, v11
	ds_bpermute_b32 v18, v25, v12
	ds_bpermute_b32 v19, v25, v9
	ds_bpermute_b32 v20, v25, v10
	s_wait_dscnt 0x2
	v_add_f64_e32 v[11:12], v[11:12], v[17:18]
	s_wait_dscnt 0x0
	v_add_f64_e32 v[17:18], v[9:10], v[19:20]
	ds_bpermute_b32 v9, v26, v11
	ds_bpermute_b32 v10, v26, v12
	ds_bpermute_b32 v19, v26, v17
	ds_bpermute_b32 v20, v26, v18
	s_wait_dscnt 0x2
	v_add_f64_e32 v[9:10], v[11:12], v[9:10]
	s_wait_dscnt 0x0
	v_add_f64_e32 v[11:12], v[17:18], v[19:20]
	ds_bpermute_b32 v17, v27, v9
	ds_bpermute_b32 v18, v27, v10
	ds_bpermute_b32 v19, v27, v11
	ds_bpermute_b32 v20, v27, v12
	s_and_saveexec_b32 s22, s1
	s_cbranch_execz .LBB94_8
; %bb.21:                               ;   in Loop: Header=BB94_9 Depth=1
	s_wait_dscnt 0x0
	v_add_f64_e32 v[11:12], v[11:12], v[19:20]
	v_add_f64_e32 v[17:18], v[9:10], v[17:18]
	s_delay_alu instid0(VALU_DEP_2) | instskip(SKIP_1) | instid1(VALU_DEP_2)
	v_mul_f64_e64 v[9:10], v[11:12], -v[3:4]
	v_mul_f64_e32 v[11:12], v[1:2], v[11:12]
	v_fma_f64 v[9:10], v[1:2], v[17:18], v[9:10]
	s_delay_alu instid0(VALU_DEP_2) | instskip(SKIP_1) | instid1(VALU_DEP_1)
	v_fma_f64 v[11:12], v[3:4], v[17:18], v[11:12]
	v_add_nc_u32_e32 v17, s26, v13
	v_ashrrev_i32_e32 v18, 31, v17
	s_and_saveexec_b32 s23, s24
	s_wait_alu 0xfffe
	s_xor_b32 s23, exec_lo, s23
	s_cbranch_execz .LBB94_23
; %bb.22:                               ;   in Loop: Header=BB94_9 Depth=1
	v_lshlrev_b64_e32 v[17:18], 4, v[17:18]
	s_delay_alu instid0(VALU_DEP_1) | instskip(SKIP_1) | instid1(VALU_DEP_2)
	v_add_co_u32 v17, vcc_lo, s16, v17
	s_wait_alu 0xfffd
	v_add_co_ci_u32_e64 v18, null, s17, v18, vcc_lo
	global_store_b128 v[17:18], v[9:12], off
                                        ; implicit-def: $vgpr17
                                        ; implicit-def: $vgpr9_vgpr10
.LBB94_23:                              ;   in Loop: Header=BB94_9 Depth=1
	s_wait_alu 0xfffe
	s_and_not1_saveexec_b32 s23, s23
	s_cbranch_execz .LBB94_8
; %bb.24:                               ;   in Loop: Header=BB94_9 Depth=1
	v_lshlrev_b64_e32 v[17:18], 4, v[17:18]
	s_delay_alu instid0(VALU_DEP_1) | instskip(SKIP_1) | instid1(VALU_DEP_2)
	v_add_co_u32 v21, vcc_lo, s16, v17
	s_wait_alu 0xfffd
	v_add_co_ci_u32_e64 v22, null, s17, v18, vcc_lo
	global_load_b128 v[17:20], v[21:22], off
	s_wait_loadcnt 0x0
	v_fma_f64 v[9:10], v[5:6], v[17:18], v[9:10]
	v_fma_f64 v[11:12], v[7:8], v[17:18], v[11:12]
	s_delay_alu instid0(VALU_DEP_2) | instskip(NEXT) | instid1(VALU_DEP_2)
	v_fma_f64 v[9:10], -v[7:8], v[19:20], v[9:10]
	v_fma_f64 v[11:12], v[5:6], v[19:20], v[11:12]
	global_store_b128 v[21:22], v[9:12], off
	s_branch .LBB94_8
.LBB94_25:
	s_endpgm
	.section	.rodata,"a",@progbits
	.p2align	6, 0x0
	.amdhsa_kernel _ZN9rocsparseL22bsrxmvn_general_kernelILj256ELj16E21rocsparse_complex_numIdElidS2_S2_EEv20rocsparse_direction_NS_24const_host_device_scalarIT1_EET3_PKS7_PKT2_SC_S9_PKT4_S7_PKT5_S6_PT6_21rocsparse_index_base_b
		.amdhsa_group_segment_fixed_size 0
		.amdhsa_private_segment_fixed_size 0
		.amdhsa_kernarg_size 120
		.amdhsa_user_sgpr_count 2
		.amdhsa_user_sgpr_dispatch_ptr 0
		.amdhsa_user_sgpr_queue_ptr 0
		.amdhsa_user_sgpr_kernarg_segment_ptr 1
		.amdhsa_user_sgpr_dispatch_id 0
		.amdhsa_user_sgpr_private_segment_size 0
		.amdhsa_wavefront_size32 1
		.amdhsa_uses_dynamic_stack 0
		.amdhsa_enable_private_segment 0
		.amdhsa_system_sgpr_workgroup_id_x 1
		.amdhsa_system_sgpr_workgroup_id_y 0
		.amdhsa_system_sgpr_workgroup_id_z 0
		.amdhsa_system_sgpr_workgroup_info 0
		.amdhsa_system_vgpr_workitem_id 0
		.amdhsa_next_free_vgpr 35
		.amdhsa_next_free_sgpr 32
		.amdhsa_reserve_vcc 1
		.amdhsa_float_round_mode_32 0
		.amdhsa_float_round_mode_16_64 0
		.amdhsa_float_denorm_mode_32 3
		.amdhsa_float_denorm_mode_16_64 3
		.amdhsa_fp16_overflow 0
		.amdhsa_workgroup_processor_mode 1
		.amdhsa_memory_ordered 1
		.amdhsa_forward_progress 1
		.amdhsa_inst_pref_size 13
		.amdhsa_round_robin_scheduling 0
		.amdhsa_exception_fp_ieee_invalid_op 0
		.amdhsa_exception_fp_denorm_src 0
		.amdhsa_exception_fp_ieee_div_zero 0
		.amdhsa_exception_fp_ieee_overflow 0
		.amdhsa_exception_fp_ieee_underflow 0
		.amdhsa_exception_fp_ieee_inexact 0
		.amdhsa_exception_int_div_zero 0
	.end_amdhsa_kernel
	.section	.text._ZN9rocsparseL22bsrxmvn_general_kernelILj256ELj16E21rocsparse_complex_numIdElidS2_S2_EEv20rocsparse_direction_NS_24const_host_device_scalarIT1_EET3_PKS7_PKT2_SC_S9_PKT4_S7_PKT5_S6_PT6_21rocsparse_index_base_b,"axG",@progbits,_ZN9rocsparseL22bsrxmvn_general_kernelILj256ELj16E21rocsparse_complex_numIdElidS2_S2_EEv20rocsparse_direction_NS_24const_host_device_scalarIT1_EET3_PKS7_PKT2_SC_S9_PKT4_S7_PKT5_S6_PT6_21rocsparse_index_base_b,comdat
.Lfunc_end94:
	.size	_ZN9rocsparseL22bsrxmvn_general_kernelILj256ELj16E21rocsparse_complex_numIdElidS2_S2_EEv20rocsparse_direction_NS_24const_host_device_scalarIT1_EET3_PKS7_PKT2_SC_S9_PKT4_S7_PKT5_S6_PT6_21rocsparse_index_base_b, .Lfunc_end94-_ZN9rocsparseL22bsrxmvn_general_kernelILj256ELj16E21rocsparse_complex_numIdElidS2_S2_EEv20rocsparse_direction_NS_24const_host_device_scalarIT1_EET3_PKS7_PKT2_SC_S9_PKT4_S7_PKT5_S6_PT6_21rocsparse_index_base_b
                                        ; -- End function
	.set _ZN9rocsparseL22bsrxmvn_general_kernelILj256ELj16E21rocsparse_complex_numIdElidS2_S2_EEv20rocsparse_direction_NS_24const_host_device_scalarIT1_EET3_PKS7_PKT2_SC_S9_PKT4_S7_PKT5_S6_PT6_21rocsparse_index_base_b.num_vgpr, 35
	.set _ZN9rocsparseL22bsrxmvn_general_kernelILj256ELj16E21rocsparse_complex_numIdElidS2_S2_EEv20rocsparse_direction_NS_24const_host_device_scalarIT1_EET3_PKS7_PKT2_SC_S9_PKT4_S7_PKT5_S6_PT6_21rocsparse_index_base_b.num_agpr, 0
	.set _ZN9rocsparseL22bsrxmvn_general_kernelILj256ELj16E21rocsparse_complex_numIdElidS2_S2_EEv20rocsparse_direction_NS_24const_host_device_scalarIT1_EET3_PKS7_PKT2_SC_S9_PKT4_S7_PKT5_S6_PT6_21rocsparse_index_base_b.numbered_sgpr, 32
	.set _ZN9rocsparseL22bsrxmvn_general_kernelILj256ELj16E21rocsparse_complex_numIdElidS2_S2_EEv20rocsparse_direction_NS_24const_host_device_scalarIT1_EET3_PKS7_PKT2_SC_S9_PKT4_S7_PKT5_S6_PT6_21rocsparse_index_base_b.num_named_barrier, 0
	.set _ZN9rocsparseL22bsrxmvn_general_kernelILj256ELj16E21rocsparse_complex_numIdElidS2_S2_EEv20rocsparse_direction_NS_24const_host_device_scalarIT1_EET3_PKS7_PKT2_SC_S9_PKT4_S7_PKT5_S6_PT6_21rocsparse_index_base_b.private_seg_size, 0
	.set _ZN9rocsparseL22bsrxmvn_general_kernelILj256ELj16E21rocsparse_complex_numIdElidS2_S2_EEv20rocsparse_direction_NS_24const_host_device_scalarIT1_EET3_PKS7_PKT2_SC_S9_PKT4_S7_PKT5_S6_PT6_21rocsparse_index_base_b.uses_vcc, 1
	.set _ZN9rocsparseL22bsrxmvn_general_kernelILj256ELj16E21rocsparse_complex_numIdElidS2_S2_EEv20rocsparse_direction_NS_24const_host_device_scalarIT1_EET3_PKS7_PKT2_SC_S9_PKT4_S7_PKT5_S6_PT6_21rocsparse_index_base_b.uses_flat_scratch, 0
	.set _ZN9rocsparseL22bsrxmvn_general_kernelILj256ELj16E21rocsparse_complex_numIdElidS2_S2_EEv20rocsparse_direction_NS_24const_host_device_scalarIT1_EET3_PKS7_PKT2_SC_S9_PKT4_S7_PKT5_S6_PT6_21rocsparse_index_base_b.has_dyn_sized_stack, 0
	.set _ZN9rocsparseL22bsrxmvn_general_kernelILj256ELj16E21rocsparse_complex_numIdElidS2_S2_EEv20rocsparse_direction_NS_24const_host_device_scalarIT1_EET3_PKS7_PKT2_SC_S9_PKT4_S7_PKT5_S6_PT6_21rocsparse_index_base_b.has_recursion, 0
	.set _ZN9rocsparseL22bsrxmvn_general_kernelILj256ELj16E21rocsparse_complex_numIdElidS2_S2_EEv20rocsparse_direction_NS_24const_host_device_scalarIT1_EET3_PKS7_PKT2_SC_S9_PKT4_S7_PKT5_S6_PT6_21rocsparse_index_base_b.has_indirect_call, 0
	.section	.AMDGPU.csdata,"",@progbits
; Kernel info:
; codeLenInByte = 1572
; TotalNumSgprs: 34
; NumVgprs: 35
; ScratchSize: 0
; MemoryBound: 0
; FloatMode: 240
; IeeeMode: 1
; LDSByteSize: 0 bytes/workgroup (compile time only)
; SGPRBlocks: 0
; VGPRBlocks: 4
; NumSGPRsForWavesPerEU: 34
; NumVGPRsForWavesPerEU: 35
; Occupancy: 16
; WaveLimiterHint : 1
; COMPUTE_PGM_RSRC2:SCRATCH_EN: 0
; COMPUTE_PGM_RSRC2:USER_SGPR: 2
; COMPUTE_PGM_RSRC2:TRAP_HANDLER: 0
; COMPUTE_PGM_RSRC2:TGID_X_EN: 1
; COMPUTE_PGM_RSRC2:TGID_Y_EN: 0
; COMPUTE_PGM_RSRC2:TGID_Z_EN: 0
; COMPUTE_PGM_RSRC2:TIDIG_COMP_CNT: 0
	.section	.text._ZN9rocsparseL22bsrxmvn_general_kernelILj1024ELj32E21rocsparse_complex_numIdElidS2_S2_EEv20rocsparse_direction_NS_24const_host_device_scalarIT1_EET3_PKS7_PKT2_SC_S9_PKT4_S7_PKT5_S6_PT6_21rocsparse_index_base_b,"axG",@progbits,_ZN9rocsparseL22bsrxmvn_general_kernelILj1024ELj32E21rocsparse_complex_numIdElidS2_S2_EEv20rocsparse_direction_NS_24const_host_device_scalarIT1_EET3_PKS7_PKT2_SC_S9_PKT4_S7_PKT5_S6_PT6_21rocsparse_index_base_b,comdat
	.globl	_ZN9rocsparseL22bsrxmvn_general_kernelILj1024ELj32E21rocsparse_complex_numIdElidS2_S2_EEv20rocsparse_direction_NS_24const_host_device_scalarIT1_EET3_PKS7_PKT2_SC_S9_PKT4_S7_PKT5_S6_PT6_21rocsparse_index_base_b ; -- Begin function _ZN9rocsparseL22bsrxmvn_general_kernelILj1024ELj32E21rocsparse_complex_numIdElidS2_S2_EEv20rocsparse_direction_NS_24const_host_device_scalarIT1_EET3_PKS7_PKT2_SC_S9_PKT4_S7_PKT5_S6_PT6_21rocsparse_index_base_b
	.p2align	8
	.type	_ZN9rocsparseL22bsrxmvn_general_kernelILj1024ELj32E21rocsparse_complex_numIdElidS2_S2_EEv20rocsparse_direction_NS_24const_host_device_scalarIT1_EET3_PKS7_PKT2_SC_S9_PKT4_S7_PKT5_S6_PT6_21rocsparse_index_base_b,@function
_ZN9rocsparseL22bsrxmvn_general_kernelILj1024ELj32E21rocsparse_complex_numIdElidS2_S2_EEv20rocsparse_direction_NS_24const_host_device_scalarIT1_EET3_PKS7_PKT2_SC_S9_PKT4_S7_PKT5_S6_PT6_21rocsparse_index_base_b: ; @_ZN9rocsparseL22bsrxmvn_general_kernelILj1024ELj32E21rocsparse_complex_numIdElidS2_S2_EEv20rocsparse_direction_NS_24const_host_device_scalarIT1_EET3_PKS7_PKT2_SC_S9_PKT4_S7_PKT5_S6_PT6_21rocsparse_index_base_b
; %bb.0:
	s_clause 0x1
	s_load_b64 s[12:13], s[0:1], 0x70
	s_load_b64 s[2:3], s[0:1], 0x8
	s_add_nc_u64 s[4:5], s[0:1], 8
	s_load_b64 s[6:7], s[0:1], 0x58
	s_wait_kmcnt 0x0
	s_bitcmp1_b32 s13, 0
	s_cselect_b32 s2, s4, s2
	s_cselect_b32 s3, s5, s3
	s_delay_alu instid0(SALU_CYCLE_1)
	v_dual_mov_b32 v1, s2 :: v_dual_mov_b32 v2, s3
	s_add_nc_u64 s[2:3], s[0:1], 0x58
	s_wait_alu 0xfffe
	s_cselect_b32 s2, s2, s6
	s_cselect_b32 s3, s3, s7
	flat_load_b128 v[1:4], v[1:2]
	s_wait_alu 0xfffe
	v_dual_mov_b32 v5, s2 :: v_dual_mov_b32 v6, s3
	flat_load_b128 v[5:8], v[5:6]
	s_wait_loadcnt_dscnt 0x101
	v_cmp_eq_f64_e32 vcc_lo, 0, v[1:2]
	v_cmp_eq_f64_e64 s2, 0, v[3:4]
	s_and_b32 s4, vcc_lo, s2
	s_mov_b32 s2, -1
	s_and_saveexec_b32 s3, s4
	s_cbranch_execz .LBB95_2
; %bb.1:
	s_wait_loadcnt_dscnt 0x0
	v_cmp_neq_f64_e32 vcc_lo, 1.0, v[5:6]
	v_cmp_neq_f64_e64 s2, 0, v[7:8]
	s_wait_alu 0xfffe
	s_or_b32 s2, vcc_lo, s2
	s_wait_alu 0xfffe
	s_or_not1_b32 s2, s2, exec_lo
.LBB95_2:
	s_wait_alu 0xfffe
	s_or_b32 exec_lo, exec_lo, s3
	s_and_saveexec_b32 s3, s2
	s_cbranch_execz .LBB95_25
; %bb.3:
	s_load_b64 s[2:3], s[0:1], 0x20
	s_wait_kmcnt 0x0
	s_cmp_eq_u64 s[2:3], 0
	s_cbranch_scc1 .LBB95_5
; %bb.4:
	s_mov_b32 s4, ttmp9
	s_ashr_i32 s5, ttmp9, 31
	s_delay_alu instid0(SALU_CYCLE_1) | instskip(NEXT) | instid1(SALU_CYCLE_1)
	s_lshl_b64 s[4:5], s[4:5], 2
	s_add_nc_u64 s[2:3], s[2:3], s[4:5]
	s_load_b32 s2, s[2:3], 0x0
	s_wait_kmcnt 0x0
	s_sub_co_i32 s22, s2, s12
	s_branch .LBB95_6
.LBB95_5:
	s_mov_b32 s22, ttmp9
.LBB95_6:
	s_load_b32 s14, s[0:1], 0x48
	v_lshrrev_b32_e32 v13, 5, v0
	s_wait_kmcnt 0x0
	s_delay_alu instid0(VALU_DEP_1)
	v_cmp_gt_i32_e32 vcc_lo, s14, v13
	s_and_b32 exec_lo, exec_lo, vcc_lo
	s_cbranch_execz .LBB95_25
; %bb.7:
	s_clause 0x2
	s_load_b256 s[4:11], s[0:1], 0x28
	s_load_b64 s[16:17], s[0:1], 0x68
	s_load_b64 s[18:19], s[0:1], 0x50
	v_dual_mov_b32 v14, 0 :: v_dual_and_b32 v15, 31, v0
	v_mbcnt_lo_u32_b32 v0, -1, 0
	s_wait_loadcnt_dscnt 0x0
	v_cmp_eq_f64_e32 vcc_lo, 0, v[5:6]
	v_cmp_eq_f64_e64 s2, 0, v[7:8]
	s_ashr_i32 s23, s22, 31
	s_load_b32 s3, s[0:1], 0x0
	v_xor_b32_e32 v9, 16, v0
	v_xor_b32_e32 v10, 8, v0
	s_lshl_b64 s[24:25], s[22:23], 3
	v_xor_b32_e32 v11, 4, v0
	v_xor_b32_e32 v12, 2, v0
	v_cmp_gt_i32_e64 s1, 32, v9
	v_xor_b32_e32 v16, 1, v0
	s_mov_b32 s13, 0
	v_mul_lo_u32 v27, s14, v13
	v_mul_lo_u32 v28, s14, v15
	s_wait_kmcnt 0x0
	s_add_nc_u64 s[4:5], s[4:5], s[24:25]
	v_cndmask_b32_e64 v9, v0, v9, s1
	v_cmp_gt_i32_e64 s1, 32, v10
	s_add_nc_u64 s[24:25], s[6:7], s[24:25]
	s_cmp_eq_u64 s[6:7], 0
	s_add_nc_u64 s[6:7], s[4:5], 8
	s_mov_b32 s15, s13
	s_cselect_b32 s7, s7, s25
	s_cselect_b32 s6, s6, s24
	s_load_b64 s[26:27], s[4:5], 0x0
	s_load_b64 s[28:29], s[6:7], 0x0
	v_cndmask_b32_e64 v10, v0, v10, s1
	v_cmp_gt_i32_e64 s1, 32, v11
	v_cmp_gt_u32_e64 s0, s14, v15
	s_mul_u64 s[20:21], s[14:15], s[14:15]
	s_cmp_lg_u32 s3, 0
	v_lshlrev_b32_e32 v23, 2, v10
	v_cndmask_b32_e64 v11, v0, v11, s1
	v_cmp_gt_i32_e64 s1, 32, v12
	s_cselect_b32 s15, -1, 0
	v_lshlrev_b32_e32 v24, 2, v11
	s_wait_alu 0xf1ff
	v_cndmask_b32_e64 v12, v0, v12, s1
	v_cmp_gt_i32_e64 s1, 32, v16
	s_and_b32 s24, vcc_lo, s2
	v_lshlrev_b32_e32 v25, 2, v12
	v_cndmask_b32_e64 v16, v0, v16, s1
	s_wait_kmcnt 0x0
	v_cmp_lt_i64_e64 s25, s[26:27], s[28:29]
	v_lshlrev_b32_e32 v0, 2, v9
	v_cmp_eq_u32_e64 s1, 31, v15
	s_sub_nc_u64 s[4:5], s[26:27], s[12:13]
	v_lshlrev_b32_e32 v26, 2, v16
	v_mov_b32_e32 v16, v14
	s_sub_nc_u64 s[6:7], s[28:29], s[12:13]
	s_mul_i32 s26, s22, s14
	s_mul_u64 s[2:3], s[4:5], s[20:21]
	s_lshl_b32 s27, s14, 5
	s_branch .LBB95_9
.LBB95_8:                               ;   in Loop: Header=BB95_9 Depth=1
	s_wait_alu 0xfffe
	s_or_b32 exec_lo, exec_lo, s22
	v_add_nc_u32_e32 v13, 32, v13
	v_add_nc_u32_e32 v27, s27, v27
	s_delay_alu instid0(VALU_DEP_2) | instskip(SKIP_1) | instid1(SALU_CYCLE_1)
	v_cmp_le_i32_e32 vcc_lo, s14, v13
	s_or_b32 s13, vcc_lo, s13
	s_and_not1_b32 exec_lo, exec_lo, s13
	s_cbranch_execz .LBB95_25
.LBB95_9:                               ; =>This Loop Header: Depth=1
                                        ;     Child Loop BB95_13 Depth 2
                                        ;       Child Loop BB95_16 Depth 3
	v_mov_b32_e32 v9, 0
	v_dual_mov_b32 v10, 0 :: v_dual_mov_b32 v11, 0
	v_mov_b32_e32 v12, 0
	s_and_not1_b32 vcc_lo, exec_lo, s25
	s_wait_alu 0xfffe
	s_cbranch_vccnz .LBB95_20
; %bb.10:                               ;   in Loop: Header=BB95_9 Depth=1
	s_wait_dscnt 0x3
	v_ashrrev_i32_e32 v17, 31, v27
	v_mov_b32_e32 v9, 0
	v_add_co_u32 v29, vcc_lo, s2, v27
	v_dual_mov_b32 v10, 0 :: v_dual_mov_b32 v11, 0
	v_mov_b32_e32 v12, 0
	s_wait_alu 0xfffd
	v_add_co_ci_u32_e64 v30, null, s3, v17, vcc_lo
	s_mov_b64 s[22:23], s[4:5]
	s_branch .LBB95_13
.LBB95_11:                              ;   in Loop: Header=BB95_13 Depth=2
	s_or_b32 exec_lo, exec_lo, s29
.LBB95_12:                              ;   in Loop: Header=BB95_13 Depth=2
	s_wait_alu 0xfffe
	s_or_b32 exec_lo, exec_lo, s28
	s_add_nc_u64 s[22:23], s[22:23], 1
	v_add_co_u32 v29, vcc_lo, v29, s20
	s_wait_alu 0xfffe
	v_cmp_ge_i64_e64 s28, s[22:23], s[6:7]
	s_wait_alu 0xfffd
	v_add_co_ci_u32_e64 v30, null, s21, v30, vcc_lo
	s_and_b32 vcc_lo, exec_lo, s28
	s_wait_alu 0xfffe
	s_cbranch_vccnz .LBB95_20
.LBB95_13:                              ;   Parent Loop BB95_9 Depth=1
                                        ; =>  This Loop Header: Depth=2
                                        ;       Child Loop BB95_16 Depth 3
	s_and_saveexec_b32 s28, s0
	s_cbranch_execz .LBB95_12
; %bb.14:                               ;   in Loop: Header=BB95_13 Depth=2
	s_wait_alu 0xfffe
	s_lshl_b64 s[30:31], s[22:23], 2
	s_wait_dscnt 0x2
	v_mad_co_u64_u32 v[17:18], null, s20, s22, v[13:14]
	s_wait_alu 0xfffe
	s_add_nc_u64 s[30:31], s[8:9], s[30:31]
	s_wait_dscnt 0x0
	v_dual_mov_b32 v31, v28 :: v_dual_mov_b32 v20, v16
	s_load_b32 s29, s[30:31], 0x0
	s_mul_i32 s30, s21, s22
	s_mul_i32 s31, s20, s23
	v_mov_b32_e32 v19, v15
	s_wait_alu 0xfffe
	v_add3_u32 v18, s31, s30, v18
	s_wait_kmcnt 0x0
	s_sub_co_i32 s29, s29, s12
	s_wait_alu 0xfffe
	s_mul_i32 s30, s29, s14
	s_mov_b32 s29, 0
	s_branch .LBB95_16
.LBB95_15:                              ;   in Loop: Header=BB95_16 Depth=3
	v_add_nc_u32_e32 v32, s30, v19
	s_delay_alu instid0(VALU_DEP_2) | instskip(SKIP_1) | instid1(VALU_DEP_3)
	v_lshlrev_b64_e32 v[21:22], 3, v[21:22]
	v_add_nc_u32_e32 v31, s27, v31
	v_ashrrev_i32_e32 v33, 31, v32
	s_delay_alu instid0(VALU_DEP_3) | instskip(SKIP_1) | instid1(VALU_DEP_4)
	v_add_co_u32 v21, vcc_lo, s10, v21
	s_wait_alu 0xfffd
	v_add_co_ci_u32_e64 v22, null, s11, v22, vcc_lo
	s_delay_alu instid0(VALU_DEP_3) | instskip(NEXT) | instid1(VALU_DEP_1)
	v_lshlrev_b64_e32 v[32:33], 4, v[32:33]
	v_add_co_u32 v32, vcc_lo, s18, v32
	s_wait_alu 0xfffd
	s_delay_alu instid0(VALU_DEP_2)
	v_add_co_ci_u32_e64 v33, null, s19, v33, vcc_lo
	v_add_co_u32 v19, vcc_lo, v19, 32
	global_load_b64 v[21:22], v[21:22], off
	global_load_b128 v[32:35], v[32:33], off
	s_wait_alu 0xfffd
	v_add_co_ci_u32_e64 v20, null, 0, v20, vcc_lo
	v_cmp_le_i32_e32 vcc_lo, s14, v19
	s_or_b32 s29, vcc_lo, s29
	s_wait_loadcnt 0x0
	v_fma_f64 v[11:12], v[21:22], v[32:33], v[11:12]
	v_fma_f64 v[9:10], v[32:33], 0, v[9:10]
	s_delay_alu instid0(VALU_DEP_2) | instskip(NEXT) | instid1(VALU_DEP_2)
	v_fma_f64 v[11:12], 0x80000000, v[34:35], v[11:12]
	v_fma_f64 v[9:10], v[21:22], v[34:35], v[9:10]
	s_wait_alu 0xfffe
	s_and_not1_b32 exec_lo, exec_lo, s29
	s_cbranch_execz .LBB95_11
.LBB95_16:                              ;   Parent Loop BB95_9 Depth=1
                                        ;     Parent Loop BB95_13 Depth=2
                                        ; =>    This Inner Loop Header: Depth=3
	s_and_b32 vcc_lo, exec_lo, s15
	s_wait_alu 0xfffe
	s_cbranch_vccz .LBB95_18
; %bb.17:                               ;   in Loop: Header=BB95_16 Depth=3
	v_ashrrev_i32_e32 v22, 31, v31
	v_add_co_u32 v21, vcc_lo, v17, v31
	s_wait_alu 0xfffd
	s_delay_alu instid0(VALU_DEP_2)
	v_add_co_ci_u32_e64 v22, null, v18, v22, vcc_lo
	s_cbranch_execnz .LBB95_15
	s_branch .LBB95_19
.LBB95_18:                              ;   in Loop: Header=BB95_16 Depth=3
                                        ; implicit-def: $vgpr21_vgpr22
.LBB95_19:                              ;   in Loop: Header=BB95_16 Depth=3
	v_add_co_u32 v21, vcc_lo, v29, v19
	s_wait_alu 0xfffd
	v_add_co_ci_u32_e64 v22, null, v30, v20, vcc_lo
	s_branch .LBB95_15
.LBB95_20:                              ;   in Loop: Header=BB95_9 Depth=1
	s_wait_dscnt 0x3
	ds_bpermute_b32 v17, v0, v11
	s_wait_dscnt 0x3
	ds_bpermute_b32 v18, v0, v12
	;; [unrolled: 2-line block ×4, first 2 shown]
	s_wait_dscnt 0x2
	v_add_f64_e32 v[11:12], v[11:12], v[17:18]
	s_wait_dscnt 0x0
	v_add_f64_e32 v[9:10], v[9:10], v[19:20]
	ds_bpermute_b32 v17, v23, v11
	ds_bpermute_b32 v18, v23, v12
	ds_bpermute_b32 v19, v23, v9
	ds_bpermute_b32 v20, v23, v10
	s_wait_dscnt 0x2
	v_add_f64_e32 v[11:12], v[11:12], v[17:18]
	s_wait_dscnt 0x0
	v_add_f64_e32 v[9:10], v[9:10], v[19:20]
	ds_bpermute_b32 v17, v24, v11
	ds_bpermute_b32 v18, v24, v12
	ds_bpermute_b32 v19, v24, v9
	ds_bpermute_b32 v20, v24, v10
	;; [unrolled: 8-line block ×4, first 2 shown]
	s_and_saveexec_b32 s22, s1
	s_cbranch_execz .LBB95_8
; %bb.21:                               ;   in Loop: Header=BB95_9 Depth=1
	s_wait_dscnt 0x0
	v_add_f64_e32 v[11:12], v[11:12], v[19:20]
	v_add_f64_e32 v[17:18], v[9:10], v[17:18]
	s_delay_alu instid0(VALU_DEP_2) | instskip(SKIP_1) | instid1(VALU_DEP_2)
	v_mul_f64_e64 v[9:10], v[11:12], -v[3:4]
	v_mul_f64_e32 v[11:12], v[1:2], v[11:12]
	v_fma_f64 v[9:10], v[1:2], v[17:18], v[9:10]
	s_delay_alu instid0(VALU_DEP_2) | instskip(SKIP_2) | instid1(VALU_DEP_1)
	v_fma_f64 v[11:12], v[3:4], v[17:18], v[11:12]
	s_wait_alu 0xfffe
	v_add_nc_u32_e32 v17, s26, v13
	v_ashrrev_i32_e32 v18, 31, v17
	s_and_saveexec_b32 s23, s24
	s_wait_alu 0xfffe
	s_xor_b32 s23, exec_lo, s23
	s_cbranch_execz .LBB95_23
; %bb.22:                               ;   in Loop: Header=BB95_9 Depth=1
	v_lshlrev_b64_e32 v[17:18], 4, v[17:18]
	s_delay_alu instid0(VALU_DEP_1) | instskip(SKIP_1) | instid1(VALU_DEP_2)
	v_add_co_u32 v17, vcc_lo, s16, v17
	s_wait_alu 0xfffd
	v_add_co_ci_u32_e64 v18, null, s17, v18, vcc_lo
	global_store_b128 v[17:18], v[9:12], off
                                        ; implicit-def: $vgpr17
                                        ; implicit-def: $vgpr9_vgpr10
.LBB95_23:                              ;   in Loop: Header=BB95_9 Depth=1
	s_wait_alu 0xfffe
	s_and_not1_saveexec_b32 s23, s23
	s_cbranch_execz .LBB95_8
; %bb.24:                               ;   in Loop: Header=BB95_9 Depth=1
	v_lshlrev_b64_e32 v[17:18], 4, v[17:18]
	s_delay_alu instid0(VALU_DEP_1) | instskip(SKIP_1) | instid1(VALU_DEP_2)
	v_add_co_u32 v21, vcc_lo, s16, v17
	s_wait_alu 0xfffd
	v_add_co_ci_u32_e64 v22, null, s17, v18, vcc_lo
	global_load_b128 v[17:20], v[21:22], off
	s_wait_loadcnt 0x0
	v_fma_f64 v[9:10], v[5:6], v[17:18], v[9:10]
	v_fma_f64 v[11:12], v[7:8], v[17:18], v[11:12]
	s_delay_alu instid0(VALU_DEP_2) | instskip(NEXT) | instid1(VALU_DEP_2)
	v_fma_f64 v[9:10], -v[7:8], v[19:20], v[9:10]
	v_fma_f64 v[11:12], v[5:6], v[19:20], v[11:12]
	global_store_b128 v[21:22], v[9:12], off
	s_branch .LBB95_8
.LBB95_25:
	s_endpgm
	.section	.rodata,"a",@progbits
	.p2align	6, 0x0
	.amdhsa_kernel _ZN9rocsparseL22bsrxmvn_general_kernelILj1024ELj32E21rocsparse_complex_numIdElidS2_S2_EEv20rocsparse_direction_NS_24const_host_device_scalarIT1_EET3_PKS7_PKT2_SC_S9_PKT4_S7_PKT5_S6_PT6_21rocsparse_index_base_b
		.amdhsa_group_segment_fixed_size 0
		.amdhsa_private_segment_fixed_size 0
		.amdhsa_kernarg_size 120
		.amdhsa_user_sgpr_count 2
		.amdhsa_user_sgpr_dispatch_ptr 0
		.amdhsa_user_sgpr_queue_ptr 0
		.amdhsa_user_sgpr_kernarg_segment_ptr 1
		.amdhsa_user_sgpr_dispatch_id 0
		.amdhsa_user_sgpr_private_segment_size 0
		.amdhsa_wavefront_size32 1
		.amdhsa_uses_dynamic_stack 0
		.amdhsa_enable_private_segment 0
		.amdhsa_system_sgpr_workgroup_id_x 1
		.amdhsa_system_sgpr_workgroup_id_y 0
		.amdhsa_system_sgpr_workgroup_id_z 0
		.amdhsa_system_sgpr_workgroup_info 0
		.amdhsa_system_vgpr_workitem_id 0
		.amdhsa_next_free_vgpr 36
		.amdhsa_next_free_sgpr 32
		.amdhsa_reserve_vcc 1
		.amdhsa_float_round_mode_32 0
		.amdhsa_float_round_mode_16_64 0
		.amdhsa_float_denorm_mode_32 3
		.amdhsa_float_denorm_mode_16_64 3
		.amdhsa_fp16_overflow 0
		.amdhsa_workgroup_processor_mode 1
		.amdhsa_memory_ordered 1
		.amdhsa_forward_progress 1
		.amdhsa_inst_pref_size 13
		.amdhsa_round_robin_scheduling 0
		.amdhsa_exception_fp_ieee_invalid_op 0
		.amdhsa_exception_fp_denorm_src 0
		.amdhsa_exception_fp_ieee_div_zero 0
		.amdhsa_exception_fp_ieee_overflow 0
		.amdhsa_exception_fp_ieee_underflow 0
		.amdhsa_exception_fp_ieee_inexact 0
		.amdhsa_exception_int_div_zero 0
	.end_amdhsa_kernel
	.section	.text._ZN9rocsparseL22bsrxmvn_general_kernelILj1024ELj32E21rocsparse_complex_numIdElidS2_S2_EEv20rocsparse_direction_NS_24const_host_device_scalarIT1_EET3_PKS7_PKT2_SC_S9_PKT4_S7_PKT5_S6_PT6_21rocsparse_index_base_b,"axG",@progbits,_ZN9rocsparseL22bsrxmvn_general_kernelILj1024ELj32E21rocsparse_complex_numIdElidS2_S2_EEv20rocsparse_direction_NS_24const_host_device_scalarIT1_EET3_PKS7_PKT2_SC_S9_PKT4_S7_PKT5_S6_PT6_21rocsparse_index_base_b,comdat
.Lfunc_end95:
	.size	_ZN9rocsparseL22bsrxmvn_general_kernelILj1024ELj32E21rocsparse_complex_numIdElidS2_S2_EEv20rocsparse_direction_NS_24const_host_device_scalarIT1_EET3_PKS7_PKT2_SC_S9_PKT4_S7_PKT5_S6_PT6_21rocsparse_index_base_b, .Lfunc_end95-_ZN9rocsparseL22bsrxmvn_general_kernelILj1024ELj32E21rocsparse_complex_numIdElidS2_S2_EEv20rocsparse_direction_NS_24const_host_device_scalarIT1_EET3_PKS7_PKT2_SC_S9_PKT4_S7_PKT5_S6_PT6_21rocsparse_index_base_b
                                        ; -- End function
	.set _ZN9rocsparseL22bsrxmvn_general_kernelILj1024ELj32E21rocsparse_complex_numIdElidS2_S2_EEv20rocsparse_direction_NS_24const_host_device_scalarIT1_EET3_PKS7_PKT2_SC_S9_PKT4_S7_PKT5_S6_PT6_21rocsparse_index_base_b.num_vgpr, 36
	.set _ZN9rocsparseL22bsrxmvn_general_kernelILj1024ELj32E21rocsparse_complex_numIdElidS2_S2_EEv20rocsparse_direction_NS_24const_host_device_scalarIT1_EET3_PKS7_PKT2_SC_S9_PKT4_S7_PKT5_S6_PT6_21rocsparse_index_base_b.num_agpr, 0
	.set _ZN9rocsparseL22bsrxmvn_general_kernelILj1024ELj32E21rocsparse_complex_numIdElidS2_S2_EEv20rocsparse_direction_NS_24const_host_device_scalarIT1_EET3_PKS7_PKT2_SC_S9_PKT4_S7_PKT5_S6_PT6_21rocsparse_index_base_b.numbered_sgpr, 32
	.set _ZN9rocsparseL22bsrxmvn_general_kernelILj1024ELj32E21rocsparse_complex_numIdElidS2_S2_EEv20rocsparse_direction_NS_24const_host_device_scalarIT1_EET3_PKS7_PKT2_SC_S9_PKT4_S7_PKT5_S6_PT6_21rocsparse_index_base_b.num_named_barrier, 0
	.set _ZN9rocsparseL22bsrxmvn_general_kernelILj1024ELj32E21rocsparse_complex_numIdElidS2_S2_EEv20rocsparse_direction_NS_24const_host_device_scalarIT1_EET3_PKS7_PKT2_SC_S9_PKT4_S7_PKT5_S6_PT6_21rocsparse_index_base_b.private_seg_size, 0
	.set _ZN9rocsparseL22bsrxmvn_general_kernelILj1024ELj32E21rocsparse_complex_numIdElidS2_S2_EEv20rocsparse_direction_NS_24const_host_device_scalarIT1_EET3_PKS7_PKT2_SC_S9_PKT4_S7_PKT5_S6_PT6_21rocsparse_index_base_b.uses_vcc, 1
	.set _ZN9rocsparseL22bsrxmvn_general_kernelILj1024ELj32E21rocsparse_complex_numIdElidS2_S2_EEv20rocsparse_direction_NS_24const_host_device_scalarIT1_EET3_PKS7_PKT2_SC_S9_PKT4_S7_PKT5_S6_PT6_21rocsparse_index_base_b.uses_flat_scratch, 0
	.set _ZN9rocsparseL22bsrxmvn_general_kernelILj1024ELj32E21rocsparse_complex_numIdElidS2_S2_EEv20rocsparse_direction_NS_24const_host_device_scalarIT1_EET3_PKS7_PKT2_SC_S9_PKT4_S7_PKT5_S6_PT6_21rocsparse_index_base_b.has_dyn_sized_stack, 0
	.set _ZN9rocsparseL22bsrxmvn_general_kernelILj1024ELj32E21rocsparse_complex_numIdElidS2_S2_EEv20rocsparse_direction_NS_24const_host_device_scalarIT1_EET3_PKS7_PKT2_SC_S9_PKT4_S7_PKT5_S6_PT6_21rocsparse_index_base_b.has_recursion, 0
	.set _ZN9rocsparseL22bsrxmvn_general_kernelILj1024ELj32E21rocsparse_complex_numIdElidS2_S2_EEv20rocsparse_direction_NS_24const_host_device_scalarIT1_EET3_PKS7_PKT2_SC_S9_PKT4_S7_PKT5_S6_PT6_21rocsparse_index_base_b.has_indirect_call, 0
	.section	.AMDGPU.csdata,"",@progbits
; Kernel info:
; codeLenInByte = 1644
; TotalNumSgprs: 34
; NumVgprs: 36
; ScratchSize: 0
; MemoryBound: 0
; FloatMode: 240
; IeeeMode: 1
; LDSByteSize: 0 bytes/workgroup (compile time only)
; SGPRBlocks: 0
; VGPRBlocks: 4
; NumSGPRsForWavesPerEU: 34
; NumVGPRsForWavesPerEU: 36
; Occupancy: 16
; WaveLimiterHint : 1
; COMPUTE_PGM_RSRC2:SCRATCH_EN: 0
; COMPUTE_PGM_RSRC2:USER_SGPR: 2
; COMPUTE_PGM_RSRC2:TRAP_HANDLER: 0
; COMPUTE_PGM_RSRC2:TGID_X_EN: 1
; COMPUTE_PGM_RSRC2:TGID_Y_EN: 0
; COMPUTE_PGM_RSRC2:TGID_Z_EN: 0
; COMPUTE_PGM_RSRC2:TIDIG_COMP_CNT: 0
	.section	.text._ZN9rocsparseL22bsrxmvn_general_kernelILj64ELj8E21rocsparse_complex_numIdElldS2_S2_EEv20rocsparse_direction_NS_24const_host_device_scalarIT1_EET3_PKS7_PKT2_SC_S9_PKT4_S7_PKT5_S6_PT6_21rocsparse_index_base_b,"axG",@progbits,_ZN9rocsparseL22bsrxmvn_general_kernelILj64ELj8E21rocsparse_complex_numIdElldS2_S2_EEv20rocsparse_direction_NS_24const_host_device_scalarIT1_EET3_PKS7_PKT2_SC_S9_PKT4_S7_PKT5_S6_PT6_21rocsparse_index_base_b,comdat
	.globl	_ZN9rocsparseL22bsrxmvn_general_kernelILj64ELj8E21rocsparse_complex_numIdElldS2_S2_EEv20rocsparse_direction_NS_24const_host_device_scalarIT1_EET3_PKS7_PKT2_SC_S9_PKT4_S7_PKT5_S6_PT6_21rocsparse_index_base_b ; -- Begin function _ZN9rocsparseL22bsrxmvn_general_kernelILj64ELj8E21rocsparse_complex_numIdElldS2_S2_EEv20rocsparse_direction_NS_24const_host_device_scalarIT1_EET3_PKS7_PKT2_SC_S9_PKT4_S7_PKT5_S6_PT6_21rocsparse_index_base_b
	.p2align	8
	.type	_ZN9rocsparseL22bsrxmvn_general_kernelILj64ELj8E21rocsparse_complex_numIdElldS2_S2_EEv20rocsparse_direction_NS_24const_host_device_scalarIT1_EET3_PKS7_PKT2_SC_S9_PKT4_S7_PKT5_S6_PT6_21rocsparse_index_base_b,@function
_ZN9rocsparseL22bsrxmvn_general_kernelILj64ELj8E21rocsparse_complex_numIdElldS2_S2_EEv20rocsparse_direction_NS_24const_host_device_scalarIT1_EET3_PKS7_PKT2_SC_S9_PKT4_S7_PKT5_S6_PT6_21rocsparse_index_base_b: ; @_ZN9rocsparseL22bsrxmvn_general_kernelILj64ELj8E21rocsparse_complex_numIdElldS2_S2_EEv20rocsparse_direction_NS_24const_host_device_scalarIT1_EET3_PKS7_PKT2_SC_S9_PKT4_S7_PKT5_S6_PT6_21rocsparse_index_base_b
; %bb.0:
	s_clause 0x1
	s_load_b64 s[12:13], s[0:1], 0x70
	s_load_b64 s[2:3], s[0:1], 0x8
	s_add_nc_u64 s[4:5], s[0:1], 8
	s_load_b64 s[6:7], s[0:1], 0x58
	s_wait_kmcnt 0x0
	s_bitcmp1_b32 s13, 0
	s_cselect_b32 s2, s4, s2
	s_cselect_b32 s3, s5, s3
	s_delay_alu instid0(SALU_CYCLE_1)
	v_dual_mov_b32 v1, s2 :: v_dual_mov_b32 v2, s3
	s_add_nc_u64 s[2:3], s[0:1], 0x58
	s_wait_alu 0xfffe
	s_cselect_b32 s2, s2, s6
	s_cselect_b32 s3, s3, s7
	flat_load_b128 v[1:4], v[1:2]
	s_wait_alu 0xfffe
	v_dual_mov_b32 v5, s2 :: v_dual_mov_b32 v6, s3
	flat_load_b128 v[5:8], v[5:6]
	s_wait_loadcnt_dscnt 0x101
	v_cmp_eq_f64_e32 vcc_lo, 0, v[1:2]
	v_cmp_eq_f64_e64 s2, 0, v[3:4]
	s_and_b32 s4, vcc_lo, s2
	s_mov_b32 s2, -1
	s_and_saveexec_b32 s3, s4
	s_cbranch_execz .LBB96_2
; %bb.1:
	s_wait_loadcnt_dscnt 0x0
	v_cmp_neq_f64_e32 vcc_lo, 1.0, v[5:6]
	v_cmp_neq_f64_e64 s2, 0, v[7:8]
	s_wait_alu 0xfffe
	s_or_b32 s2, vcc_lo, s2
	s_wait_alu 0xfffe
	s_or_not1_b32 s2, s2, exec_lo
.LBB96_2:
	s_wait_alu 0xfffe
	s_or_b32 exec_lo, exec_lo, s3
	s_and_saveexec_b32 s3, s2
	s_cbranch_execz .LBB96_24
; %bb.3:
	s_load_b64 s[2:3], s[0:1], 0x20
	s_mov_b32 s17, 0
	s_mov_b32 s16, ttmp9
	s_mov_b32 s13, s17
	s_wait_kmcnt 0x0
	s_cmp_eq_u64 s[2:3], 0
	s_cbranch_scc1 .LBB96_5
; %bb.4:
	s_lshl_b64 s[4:5], s[16:17], 3
	s_delay_alu instid0(SALU_CYCLE_1)
	s_add_nc_u64 s[2:3], s[2:3], s[4:5]
	s_load_b64 s[2:3], s[2:3], 0x0
	s_wait_kmcnt 0x0
	s_sub_nc_u64 s[16:17], s[2:3], s[12:13]
.LBB96_5:
	s_load_b64 s[14:15], s[0:1], 0x48
	v_lshrrev_b32_e32 v13, 3, v0
	v_mov_b32_e32 v14, 0
	s_wait_kmcnt 0x0
	s_delay_alu instid0(VALU_DEP_1)
	v_cmp_gt_i64_e32 vcc_lo, s[14:15], v[13:14]
	s_and_b32 exec_lo, exec_lo, vcc_lo
	s_cbranch_execz .LBB96_24
; %bb.6:
	s_clause 0x2
	s_load_b256 s[4:11], s[0:1], 0x28
	s_load_b64 s[18:19], s[0:1], 0x50
	s_load_b64 s[20:21], s[0:1], 0x68
	s_lshl_b64 s[22:23], s[16:17], 3
	v_dual_mov_b32 v16, v14 :: v_dual_and_b32 v15, 7, v0
	v_mbcnt_lo_u32_b32 v0, -1, 0
	s_wait_loadcnt_dscnt 0x0
	v_cmp_eq_f64_e32 vcc_lo, 0, v[5:6]
	v_cmp_eq_f64_e64 s2, 0, v[7:8]
	v_lshlrev_b32_e32 v12, 4, v15
	s_load_b32 s26, s[0:1], 0x0
	v_xor_b32_e32 v9, 4, v0
	v_xor_b32_e32 v10, 2, v0
	;; [unrolled: 1-line block ×3, first 2 shown]
	s_mul_u64 s[16:17], s[16:17], s[14:15]
	v_cmp_gt_u64_e64 s0, s[14:15], v[15:16]
	v_cmp_gt_i32_e64 s3, 32, v9
	v_cmp_eq_u32_e64 s1, 7, v15
	s_mov_b32 s28, 0
	s_wait_kmcnt 0x0
	s_add_nc_u64 s[4:5], s[4:5], s[22:23]
	s_wait_alu 0xf1ff
	v_cndmask_b32_e64 v9, v0, v9, s3
	s_load_b64 s[24:25], s[4:5], 0x0
	v_cmp_gt_i32_e64 s3, 32, v10
	s_add_nc_u64 s[22:23], s[6:7], s[22:23]
	s_cmp_eq_u64 s[6:7], 0
	s_add_nc_u64 s[4:5], s[4:5], 8
	s_wait_alu 0xf1ff
	v_cndmask_b32_e64 v10, v0, v10, s3
	v_cmp_gt_i32_e64 s3, 32, v11
	s_cselect_b32 s5, s5, s23
	s_cselect_b32 s4, s4, s22
	s_cmp_lg_u32 s26, 0
	s_load_b64 s[22:23], s[4:5], 0x0
	v_cndmask_b32_e64 v11, v0, v11, s3
	v_lshlrev_b32_e32 v0, 2, v9
	v_lshlrev_b32_e32 v29, 2, v10
	s_cselect_b32 s29, -1, 0
	s_delay_alu instid0(VALU_DEP_3)
	v_lshlrev_b32_e32 v30, 2, v11
	v_add_co_u32 v11, s3, s18, v12
	s_wait_kmcnt 0x0
	s_sub_nc_u64 s[4:5], s[24:25], s[12:13]
	s_wait_alu 0xf1ff
	v_add_co_ci_u32_e64 v12, null, s19, 0, s3
	v_mad_co_u64_u32 v[9:10], null, s14, s4, v[13:14]
	s_mul_i32 s3, s15, s4
	s_mul_i32 s6, s14, s5
	s_lshl_b64 s[18:19], s[14:15], 4
	v_cmp_lt_i64_e64 s30, s[24:25], s[22:23]
	s_wait_alu 0xfffe
	v_add3_u32 v10, s6, s3, v10
	v_mul_lo_u32 v21, s15, v9
	v_mad_co_u64_u32 v[17:18], null, s14, v9, 0
	v_add_co_u32 v19, s3, v11, 8
	s_delay_alu instid0(VALU_DEP_4)
	v_mul_lo_u32 v9, s14, v10
	s_wait_alu 0xf1ff
	v_add_co_ci_u32_e64 v20, null, 0, v12, s3
	s_lshl_b64 s[6:7], s[16:17], 4
	s_and_b32 s3, vcc_lo, s2
	s_wait_alu 0xfffe
	s_add_nc_u64 s[6:7], s[20:21], s[6:7]
	s_sub_nc_u64 s[16:17], s[22:23], s[12:13]
	s_lshl_b64 s[20:21], s[14:15], 3
	v_add3_u32 v18, v18, v9, v21
	s_mul_u64 s[22:23], s[14:15], s[14:15]
	s_branch .LBB96_8
.LBB96_7:                               ;   in Loop: Header=BB96_8 Depth=1
	s_wait_alu 0xfffe
	s_or_b32 exec_lo, exec_lo, s2
	v_add_co_u32 v13, vcc_lo, v13, 8
	s_wait_alu 0xfffd
	v_add_co_ci_u32_e64 v14, null, 0, v14, vcc_lo
	v_add_co_u32 v17, s2, v17, s20
	s_wait_alu 0xf1ff
	v_add_co_ci_u32_e64 v18, null, s21, v18, s2
	s_delay_alu instid0(VALU_DEP_3) | instskip(SKIP_1) | instid1(SALU_CYCLE_1)
	v_cmp_le_i64_e32 vcc_lo, s[14:15], v[13:14]
	s_or_b32 s28, vcc_lo, s28
	s_and_not1_b32 exec_lo, exec_lo, s28
	s_cbranch_execz .LBB96_24
.LBB96_8:                               ; =>This Loop Header: Depth=1
                                        ;     Child Loop BB96_12 Depth 2
                                        ;       Child Loop BB96_15 Depth 3
	v_mov_b32_e32 v9, 0
	v_dual_mov_b32 v10, 0 :: v_dual_mov_b32 v11, 0
	v_mov_b32_e32 v12, 0
	s_and_not1_b32 vcc_lo, exec_lo, s30
	s_wait_alu 0xfffe
	s_cbranch_vccnz .LBB96_19
; %bb.9:                                ;   in Loop: Header=BB96_8 Depth=1
	v_mov_b32_e32 v9, 0
	v_dual_mov_b32 v10, 0 :: v_dual_mov_b32 v11, 0
	v_mov_b32_e32 v12, 0
	s_wait_dscnt 0x2
	v_dual_mov_b32 v22, v18 :: v_dual_mov_b32 v21, v17
	s_mov_b64 s[24:25], s[4:5]
	s_branch .LBB96_12
.LBB96_10:                              ;   in Loop: Header=BB96_12 Depth=2
	s_or_b32 exec_lo, exec_lo, s33
.LBB96_11:                              ;   in Loop: Header=BB96_12 Depth=2
	s_delay_alu instid0(SALU_CYCLE_1)
	s_or_b32 exec_lo, exec_lo, s31
	s_wait_alu 0xfffe
	s_add_nc_u64 s[24:25], s[24:25], 1
	v_add_co_u32 v21, vcc_lo, v21, s22
	s_wait_alu 0xfffe
	v_cmp_ge_i64_e64 s2, s[24:25], s[16:17]
	s_wait_alu 0xfffd
	v_add_co_ci_u32_e64 v22, null, s23, v22, vcc_lo
	s_and_b32 vcc_lo, exec_lo, s2
	s_wait_alu 0xfffe
	s_cbranch_vccnz .LBB96_19
.LBB96_12:                              ;   Parent Loop BB96_8 Depth=1
                                        ; =>  This Loop Header: Depth=2
                                        ;       Child Loop BB96_15 Depth 3
	s_and_saveexec_b32 s31, s0
	s_cbranch_execz .LBB96_11
; %bb.13:                               ;   in Loop: Header=BB96_12 Depth=2
	s_wait_alu 0xfffe
	s_lshl_b64 s[26:27], s[24:25], 3
	v_dual_mov_b32 v26, v16 :: v_dual_mov_b32 v25, v15
	s_wait_alu 0xfffe
	s_add_nc_u64 s[26:27], s[8:9], s[26:27]
	s_mov_b32 s33, 0
	s_load_b64 s[26:27], s[26:27], 0x0
	s_wait_kmcnt 0x0
	s_sub_nc_u64 s[26:27], s[26:27], s[12:13]
	s_wait_dscnt 0x0
	s_wait_alu 0xfffe
	v_mad_co_u64_u32 v[23:24], null, s18, s26, v[19:20]
	s_mul_i32 s2, s19, s26
	s_mul_i32 s26, s18, s27
	s_wait_alu 0xfffe
	v_add3_u32 v24, s26, s2, v24
	s_mul_u64 s[26:27], s[24:25], s[14:15]
	s_branch .LBB96_15
.LBB96_14:                              ;   in Loop: Header=BB96_15 Depth=3
	s_delay_alu instid0(VALU_DEP_1) | instskip(NEXT) | instid1(VALU_DEP_1)
	v_lshlrev_b64_e32 v[27:28], 3, v[27:28]
	v_add_co_u32 v27, vcc_lo, s10, v27
	s_wait_alu 0xfffd
	s_delay_alu instid0(VALU_DEP_2)
	v_add_co_ci_u32_e64 v28, null, s11, v28, vcc_lo
	v_add_co_u32 v25, vcc_lo, v25, 8
	global_load_b128 v[31:34], v[23:24], off offset:-8
	global_load_b64 v[27:28], v[27:28], off
	s_wait_alu 0xfffd
	v_add_co_ci_u32_e64 v26, null, 0, v26, vcc_lo
	v_add_co_u32 v23, s2, 0x80, v23
	s_wait_alu 0xf1ff
	v_add_co_ci_u32_e64 v24, null, 0, v24, s2
	s_delay_alu instid0(VALU_DEP_3)
	v_cmp_le_i64_e32 vcc_lo, s[14:15], v[25:26]
	s_or_b32 s33, vcc_lo, s33
	s_wait_loadcnt 0x1
	v_fma_f64 v[9:10], v[31:32], 0, v[9:10]
	s_wait_loadcnt 0x0
	v_fma_f64 v[11:12], v[27:28], v[31:32], v[11:12]
	s_delay_alu instid0(VALU_DEP_2) | instskip(NEXT) | instid1(VALU_DEP_2)
	v_fma_f64 v[9:10], v[27:28], v[33:34], v[9:10]
	v_fma_f64 v[11:12], 0x80000000, v[33:34], v[11:12]
	s_and_not1_b32 exec_lo, exec_lo, s33
	s_cbranch_execz .LBB96_10
.LBB96_15:                              ;   Parent Loop BB96_8 Depth=1
                                        ;     Parent Loop BB96_12 Depth=2
                                        ; =>    This Inner Loop Header: Depth=3
	s_and_b32 vcc_lo, exec_lo, s29
	s_wait_alu 0xfffe
	s_cbranch_vccz .LBB96_17
; %bb.16:                               ;   in Loop: Header=BB96_15 Depth=3
	v_add_co_u32 v27, vcc_lo, v25, s26
	s_wait_alu 0xfffd
	v_add_co_ci_u32_e64 v28, null, s27, v26, vcc_lo
	s_delay_alu instid0(VALU_DEP_2) | instskip(NEXT) | instid1(VALU_DEP_2)
	v_mul_lo_u32 v31, v27, s15
	v_mul_lo_u32 v32, v28, s14
	v_mad_co_u64_u32 v[27:28], null, v27, s14, v[13:14]
	s_delay_alu instid0(VALU_DEP_1)
	v_add3_u32 v28, v32, v28, v31
	s_cbranch_execnz .LBB96_14
	s_branch .LBB96_18
.LBB96_17:                              ;   in Loop: Header=BB96_15 Depth=3
                                        ; implicit-def: $vgpr27_vgpr28
.LBB96_18:                              ;   in Loop: Header=BB96_15 Depth=3
	v_add_co_u32 v27, vcc_lo, v21, v25
	s_wait_alu 0xfffd
	v_add_co_ci_u32_e64 v28, null, v22, v26, vcc_lo
	s_branch .LBB96_14
.LBB96_19:                              ;   in Loop: Header=BB96_8 Depth=1
	s_wait_dscnt 0x3
	ds_bpermute_b32 v21, v0, v11
	s_wait_dscnt 0x3
	ds_bpermute_b32 v22, v0, v12
	s_wait_dscnt 0x3
	ds_bpermute_b32 v23, v0, v9
	s_wait_dscnt 0x3
	ds_bpermute_b32 v24, v0, v10
	s_wait_dscnt 0x2
	v_add_f64_e32 v[11:12], v[11:12], v[21:22]
	s_wait_dscnt 0x0
	v_add_f64_e32 v[21:22], v[9:10], v[23:24]
	ds_bpermute_b32 v9, v29, v11
	ds_bpermute_b32 v10, v29, v12
	;; [unrolled: 1-line block ×4, first 2 shown]
	s_wait_dscnt 0x2
	v_add_f64_e32 v[9:10], v[11:12], v[9:10]
	s_wait_dscnt 0x0
	v_add_f64_e32 v[11:12], v[21:22], v[23:24]
	ds_bpermute_b32 v21, v30, v9
	ds_bpermute_b32 v22, v30, v10
	ds_bpermute_b32 v23, v30, v11
	ds_bpermute_b32 v24, v30, v12
	s_and_saveexec_b32 s2, s1
	s_cbranch_execz .LBB96_7
; %bb.20:                               ;   in Loop: Header=BB96_8 Depth=1
	s_wait_dscnt 0x0
	v_add_f64_e32 v[11:12], v[11:12], v[23:24]
	v_add_f64_e32 v[21:22], v[9:10], v[21:22]
	s_delay_alu instid0(VALU_DEP_2) | instskip(SKIP_1) | instid1(VALU_DEP_2)
	v_mul_f64_e64 v[9:10], v[11:12], -v[3:4]
	v_mul_f64_e32 v[11:12], v[1:2], v[11:12]
	v_fma_f64 v[9:10], v[1:2], v[21:22], v[9:10]
	s_delay_alu instid0(VALU_DEP_2)
	v_fma_f64 v[11:12], v[3:4], v[21:22], v[11:12]
	v_lshlrev_b64_e32 v[21:22], 4, v[13:14]
	s_and_saveexec_b32 s24, s3
	s_wait_alu 0xfffe
	s_xor_b32 s24, exec_lo, s24
	s_cbranch_execz .LBB96_22
; %bb.21:                               ;   in Loop: Header=BB96_8 Depth=1
	s_delay_alu instid0(VALU_DEP_1)
	v_add_co_u32 v21, vcc_lo, s6, v21
	s_wait_alu 0xfffd
	v_add_co_ci_u32_e64 v22, null, s7, v22, vcc_lo
	global_store_b128 v[21:22], v[9:12], off
                                        ; implicit-def: $vgpr21_vgpr22
                                        ; implicit-def: $vgpr9_vgpr10
.LBB96_22:                              ;   in Loop: Header=BB96_8 Depth=1
	s_wait_alu 0xfffe
	s_and_not1_saveexec_b32 s24, s24
	s_cbranch_execz .LBB96_7
; %bb.23:                               ;   in Loop: Header=BB96_8 Depth=1
	v_add_co_u32 v25, vcc_lo, s6, v21
	s_wait_alu 0xfffd
	v_add_co_ci_u32_e64 v26, null, s7, v22, vcc_lo
	global_load_b128 v[21:24], v[25:26], off
	s_wait_loadcnt 0x0
	v_fma_f64 v[9:10], v[5:6], v[21:22], v[9:10]
	v_fma_f64 v[11:12], v[7:8], v[21:22], v[11:12]
	s_delay_alu instid0(VALU_DEP_2) | instskip(NEXT) | instid1(VALU_DEP_2)
	v_fma_f64 v[9:10], -v[7:8], v[23:24], v[9:10]
	v_fma_f64 v[11:12], v[5:6], v[23:24], v[11:12]
	global_store_b128 v[25:26], v[9:12], off
	s_branch .LBB96_7
.LBB96_24:
	s_endpgm
	.section	.rodata,"a",@progbits
	.p2align	6, 0x0
	.amdhsa_kernel _ZN9rocsparseL22bsrxmvn_general_kernelILj64ELj8E21rocsparse_complex_numIdElldS2_S2_EEv20rocsparse_direction_NS_24const_host_device_scalarIT1_EET3_PKS7_PKT2_SC_S9_PKT4_S7_PKT5_S6_PT6_21rocsparse_index_base_b
		.amdhsa_group_segment_fixed_size 0
		.amdhsa_private_segment_fixed_size 0
		.amdhsa_kernarg_size 120
		.amdhsa_user_sgpr_count 2
		.amdhsa_user_sgpr_dispatch_ptr 0
		.amdhsa_user_sgpr_queue_ptr 0
		.amdhsa_user_sgpr_kernarg_segment_ptr 1
		.amdhsa_user_sgpr_dispatch_id 0
		.amdhsa_user_sgpr_private_segment_size 0
		.amdhsa_wavefront_size32 1
		.amdhsa_uses_dynamic_stack 0
		.amdhsa_enable_private_segment 0
		.amdhsa_system_sgpr_workgroup_id_x 1
		.amdhsa_system_sgpr_workgroup_id_y 0
		.amdhsa_system_sgpr_workgroup_id_z 0
		.amdhsa_system_sgpr_workgroup_info 0
		.amdhsa_system_vgpr_workitem_id 0
		.amdhsa_next_free_vgpr 35
		.amdhsa_next_free_sgpr 34
		.amdhsa_reserve_vcc 1
		.amdhsa_float_round_mode_32 0
		.amdhsa_float_round_mode_16_64 0
		.amdhsa_float_denorm_mode_32 3
		.amdhsa_float_denorm_mode_16_64 3
		.amdhsa_fp16_overflow 0
		.amdhsa_workgroup_processor_mode 1
		.amdhsa_memory_ordered 1
		.amdhsa_forward_progress 1
		.amdhsa_inst_pref_size 13
		.amdhsa_round_robin_scheduling 0
		.amdhsa_exception_fp_ieee_invalid_op 0
		.amdhsa_exception_fp_denorm_src 0
		.amdhsa_exception_fp_ieee_div_zero 0
		.amdhsa_exception_fp_ieee_overflow 0
		.amdhsa_exception_fp_ieee_underflow 0
		.amdhsa_exception_fp_ieee_inexact 0
		.amdhsa_exception_int_div_zero 0
	.end_amdhsa_kernel
	.section	.text._ZN9rocsparseL22bsrxmvn_general_kernelILj64ELj8E21rocsparse_complex_numIdElldS2_S2_EEv20rocsparse_direction_NS_24const_host_device_scalarIT1_EET3_PKS7_PKT2_SC_S9_PKT4_S7_PKT5_S6_PT6_21rocsparse_index_base_b,"axG",@progbits,_ZN9rocsparseL22bsrxmvn_general_kernelILj64ELj8E21rocsparse_complex_numIdElldS2_S2_EEv20rocsparse_direction_NS_24const_host_device_scalarIT1_EET3_PKS7_PKT2_SC_S9_PKT4_S7_PKT5_S6_PT6_21rocsparse_index_base_b,comdat
.Lfunc_end96:
	.size	_ZN9rocsparseL22bsrxmvn_general_kernelILj64ELj8E21rocsparse_complex_numIdElldS2_S2_EEv20rocsparse_direction_NS_24const_host_device_scalarIT1_EET3_PKS7_PKT2_SC_S9_PKT4_S7_PKT5_S6_PT6_21rocsparse_index_base_b, .Lfunc_end96-_ZN9rocsparseL22bsrxmvn_general_kernelILj64ELj8E21rocsparse_complex_numIdElldS2_S2_EEv20rocsparse_direction_NS_24const_host_device_scalarIT1_EET3_PKS7_PKT2_SC_S9_PKT4_S7_PKT5_S6_PT6_21rocsparse_index_base_b
                                        ; -- End function
	.set _ZN9rocsparseL22bsrxmvn_general_kernelILj64ELj8E21rocsparse_complex_numIdElldS2_S2_EEv20rocsparse_direction_NS_24const_host_device_scalarIT1_EET3_PKS7_PKT2_SC_S9_PKT4_S7_PKT5_S6_PT6_21rocsparse_index_base_b.num_vgpr, 35
	.set _ZN9rocsparseL22bsrxmvn_general_kernelILj64ELj8E21rocsparse_complex_numIdElldS2_S2_EEv20rocsparse_direction_NS_24const_host_device_scalarIT1_EET3_PKS7_PKT2_SC_S9_PKT4_S7_PKT5_S6_PT6_21rocsparse_index_base_b.num_agpr, 0
	.set _ZN9rocsparseL22bsrxmvn_general_kernelILj64ELj8E21rocsparse_complex_numIdElldS2_S2_EEv20rocsparse_direction_NS_24const_host_device_scalarIT1_EET3_PKS7_PKT2_SC_S9_PKT4_S7_PKT5_S6_PT6_21rocsparse_index_base_b.numbered_sgpr, 34
	.set _ZN9rocsparseL22bsrxmvn_general_kernelILj64ELj8E21rocsparse_complex_numIdElldS2_S2_EEv20rocsparse_direction_NS_24const_host_device_scalarIT1_EET3_PKS7_PKT2_SC_S9_PKT4_S7_PKT5_S6_PT6_21rocsparse_index_base_b.num_named_barrier, 0
	.set _ZN9rocsparseL22bsrxmvn_general_kernelILj64ELj8E21rocsparse_complex_numIdElldS2_S2_EEv20rocsparse_direction_NS_24const_host_device_scalarIT1_EET3_PKS7_PKT2_SC_S9_PKT4_S7_PKT5_S6_PT6_21rocsparse_index_base_b.private_seg_size, 0
	.set _ZN9rocsparseL22bsrxmvn_general_kernelILj64ELj8E21rocsparse_complex_numIdElldS2_S2_EEv20rocsparse_direction_NS_24const_host_device_scalarIT1_EET3_PKS7_PKT2_SC_S9_PKT4_S7_PKT5_S6_PT6_21rocsparse_index_base_b.uses_vcc, 1
	.set _ZN9rocsparseL22bsrxmvn_general_kernelILj64ELj8E21rocsparse_complex_numIdElldS2_S2_EEv20rocsparse_direction_NS_24const_host_device_scalarIT1_EET3_PKS7_PKT2_SC_S9_PKT4_S7_PKT5_S6_PT6_21rocsparse_index_base_b.uses_flat_scratch, 0
	.set _ZN9rocsparseL22bsrxmvn_general_kernelILj64ELj8E21rocsparse_complex_numIdElldS2_S2_EEv20rocsparse_direction_NS_24const_host_device_scalarIT1_EET3_PKS7_PKT2_SC_S9_PKT4_S7_PKT5_S6_PT6_21rocsparse_index_base_b.has_dyn_sized_stack, 0
	.set _ZN9rocsparseL22bsrxmvn_general_kernelILj64ELj8E21rocsparse_complex_numIdElldS2_S2_EEv20rocsparse_direction_NS_24const_host_device_scalarIT1_EET3_PKS7_PKT2_SC_S9_PKT4_S7_PKT5_S6_PT6_21rocsparse_index_base_b.has_recursion, 0
	.set _ZN9rocsparseL22bsrxmvn_general_kernelILj64ELj8E21rocsparse_complex_numIdElldS2_S2_EEv20rocsparse_direction_NS_24const_host_device_scalarIT1_EET3_PKS7_PKT2_SC_S9_PKT4_S7_PKT5_S6_PT6_21rocsparse_index_base_b.has_indirect_call, 0
	.section	.AMDGPU.csdata,"",@progbits
; Kernel info:
; codeLenInByte = 1608
; TotalNumSgprs: 36
; NumVgprs: 35
; ScratchSize: 0
; MemoryBound: 0
; FloatMode: 240
; IeeeMode: 1
; LDSByteSize: 0 bytes/workgroup (compile time only)
; SGPRBlocks: 0
; VGPRBlocks: 4
; NumSGPRsForWavesPerEU: 36
; NumVGPRsForWavesPerEU: 35
; Occupancy: 16
; WaveLimiterHint : 0
; COMPUTE_PGM_RSRC2:SCRATCH_EN: 0
; COMPUTE_PGM_RSRC2:USER_SGPR: 2
; COMPUTE_PGM_RSRC2:TRAP_HANDLER: 0
; COMPUTE_PGM_RSRC2:TGID_X_EN: 1
; COMPUTE_PGM_RSRC2:TGID_Y_EN: 0
; COMPUTE_PGM_RSRC2:TGID_Z_EN: 0
; COMPUTE_PGM_RSRC2:TIDIG_COMP_CNT: 0
	.section	.text._ZN9rocsparseL22bsrxmvn_general_kernelILj256ELj16E21rocsparse_complex_numIdElldS2_S2_EEv20rocsparse_direction_NS_24const_host_device_scalarIT1_EET3_PKS7_PKT2_SC_S9_PKT4_S7_PKT5_S6_PT6_21rocsparse_index_base_b,"axG",@progbits,_ZN9rocsparseL22bsrxmvn_general_kernelILj256ELj16E21rocsparse_complex_numIdElldS2_S2_EEv20rocsparse_direction_NS_24const_host_device_scalarIT1_EET3_PKS7_PKT2_SC_S9_PKT4_S7_PKT5_S6_PT6_21rocsparse_index_base_b,comdat
	.globl	_ZN9rocsparseL22bsrxmvn_general_kernelILj256ELj16E21rocsparse_complex_numIdElldS2_S2_EEv20rocsparse_direction_NS_24const_host_device_scalarIT1_EET3_PKS7_PKT2_SC_S9_PKT4_S7_PKT5_S6_PT6_21rocsparse_index_base_b ; -- Begin function _ZN9rocsparseL22bsrxmvn_general_kernelILj256ELj16E21rocsparse_complex_numIdElldS2_S2_EEv20rocsparse_direction_NS_24const_host_device_scalarIT1_EET3_PKS7_PKT2_SC_S9_PKT4_S7_PKT5_S6_PT6_21rocsparse_index_base_b
	.p2align	8
	.type	_ZN9rocsparseL22bsrxmvn_general_kernelILj256ELj16E21rocsparse_complex_numIdElldS2_S2_EEv20rocsparse_direction_NS_24const_host_device_scalarIT1_EET3_PKS7_PKT2_SC_S9_PKT4_S7_PKT5_S6_PT6_21rocsparse_index_base_b,@function
_ZN9rocsparseL22bsrxmvn_general_kernelILj256ELj16E21rocsparse_complex_numIdElldS2_S2_EEv20rocsparse_direction_NS_24const_host_device_scalarIT1_EET3_PKS7_PKT2_SC_S9_PKT4_S7_PKT5_S6_PT6_21rocsparse_index_base_b: ; @_ZN9rocsparseL22bsrxmvn_general_kernelILj256ELj16E21rocsparse_complex_numIdElldS2_S2_EEv20rocsparse_direction_NS_24const_host_device_scalarIT1_EET3_PKS7_PKT2_SC_S9_PKT4_S7_PKT5_S6_PT6_21rocsparse_index_base_b
; %bb.0:
	s_clause 0x1
	s_load_b64 s[12:13], s[0:1], 0x70
	s_load_b64 s[2:3], s[0:1], 0x8
	s_add_nc_u64 s[4:5], s[0:1], 8
	s_load_b64 s[6:7], s[0:1], 0x58
	s_wait_kmcnt 0x0
	s_bitcmp1_b32 s13, 0
	s_cselect_b32 s2, s4, s2
	s_cselect_b32 s3, s5, s3
	s_delay_alu instid0(SALU_CYCLE_1)
	v_dual_mov_b32 v1, s2 :: v_dual_mov_b32 v2, s3
	s_add_nc_u64 s[2:3], s[0:1], 0x58
	s_wait_alu 0xfffe
	s_cselect_b32 s2, s2, s6
	s_cselect_b32 s3, s3, s7
	flat_load_b128 v[1:4], v[1:2]
	s_wait_alu 0xfffe
	v_dual_mov_b32 v5, s2 :: v_dual_mov_b32 v6, s3
	flat_load_b128 v[5:8], v[5:6]
	s_wait_loadcnt_dscnt 0x101
	v_cmp_eq_f64_e32 vcc_lo, 0, v[1:2]
	v_cmp_eq_f64_e64 s2, 0, v[3:4]
	s_and_b32 s4, vcc_lo, s2
	s_mov_b32 s2, -1
	s_and_saveexec_b32 s3, s4
	s_cbranch_execz .LBB97_2
; %bb.1:
	s_wait_loadcnt_dscnt 0x0
	v_cmp_neq_f64_e32 vcc_lo, 1.0, v[5:6]
	v_cmp_neq_f64_e64 s2, 0, v[7:8]
	s_wait_alu 0xfffe
	s_or_b32 s2, vcc_lo, s2
	s_wait_alu 0xfffe
	s_or_not1_b32 s2, s2, exec_lo
.LBB97_2:
	s_wait_alu 0xfffe
	s_or_b32 exec_lo, exec_lo, s3
	s_and_saveexec_b32 s3, s2
	s_cbranch_execz .LBB97_24
; %bb.3:
	s_load_b64 s[2:3], s[0:1], 0x20
	s_mov_b32 s19, 0
	s_mov_b32 s18, ttmp9
	s_mov_b32 s13, s19
	s_wait_kmcnt 0x0
	s_cmp_eq_u64 s[2:3], 0
	s_cbranch_scc1 .LBB97_5
; %bb.4:
	s_lshl_b64 s[4:5], s[18:19], 3
	s_delay_alu instid0(SALU_CYCLE_1)
	s_add_nc_u64 s[2:3], s[2:3], s[4:5]
	s_load_b64 s[2:3], s[2:3], 0x0
	s_wait_kmcnt 0x0
	s_sub_nc_u64 s[18:19], s[2:3], s[12:13]
.LBB97_5:
	s_load_b64 s[14:15], s[0:1], 0x48
	v_lshrrev_b32_e32 v13, 4, v0
	v_mov_b32_e32 v14, 0
	s_wait_kmcnt 0x0
	s_delay_alu instid0(VALU_DEP_1)
	v_cmp_gt_i64_e32 vcc_lo, s[14:15], v[13:14]
	s_and_b32 exec_lo, exec_lo, vcc_lo
	s_cbranch_execz .LBB97_24
; %bb.6:
	s_clause 0x2
	s_load_b256 s[4:11], s[0:1], 0x28
	s_load_b64 s[20:21], s[0:1], 0x50
	s_load_b64 s[16:17], s[0:1], 0x68
	v_dual_mov_b32 v16, v14 :: v_dual_and_b32 v15, 15, v0
	v_mbcnt_lo_u32_b32 v0, -1, 0
	s_lshl_b64 s[22:23], s[18:19], 3
	s_wait_loadcnt_dscnt 0x0
	v_cmp_eq_f64_e32 vcc_lo, 0, v[5:6]
	v_cmp_eq_f64_e64 s2, 0, v[7:8]
	s_load_b32 s27, s[0:1], 0x0
	v_xor_b32_e32 v9, 8, v0
	v_xor_b32_e32 v10, 4, v0
	;; [unrolled: 1-line block ×4, first 2 shown]
	v_lshlrev_b32_e32 v17, 4, v15
	v_cmp_gt_i32_e64 s3, 32, v9
	s_mul_u64 s[18:19], s[18:19], s[14:15]
	v_cmp_gt_u64_e64 s0, s[14:15], v[15:16]
	v_cmp_eq_u32_e64 s1, 15, v15
	s_mov_b32 s26, 0
	s_wait_kmcnt 0x0
	s_add_nc_u64 s[4:5], s[4:5], s[22:23]
	v_cndmask_b32_e64 v9, v0, v9, s3
	s_load_b64 s[24:25], s[4:5], 0x0
	v_cmp_gt_i32_e64 s3, 32, v10
	s_add_nc_u64 s[22:23], s[6:7], s[22:23]
	s_cmp_eq_u64 s[6:7], 0
	s_add_nc_u64 s[4:5], s[4:5], 8
	s_wait_alu 0xf1ff
	v_cndmask_b32_e64 v10, v0, v10, s3
	v_cmp_gt_i32_e64 s3, 32, v11
	s_cselect_b32 s7, s5, s23
	s_cselect_b32 s6, s4, s22
	s_cmp_lg_u32 s27, 0
	v_lshlrev_b32_e32 v29, 2, v10
	s_wait_alu 0xf1ff
	v_cndmask_b32_e64 v11, v0, v11, s3
	v_cmp_gt_i32_e64 s3, 32, v12
	s_load_b64 s[22:23], s[6:7], 0x0
	v_lshlrev_b32_e32 v30, 2, v11
	v_cndmask_b32_e64 v12, v0, v12, s3
	v_lshlrev_b32_e32 v0, 2, v9
	s_wait_kmcnt 0x0
	s_sub_nc_u64 s[4:5], s[24:25], s[12:13]
	v_add_co_u32 v11, s7, s20, v17
	v_mad_co_u64_u32 v[9:10], null, s14, s4, v[13:14]
	s_mul_i32 s3, s15, s4
	s_mul_i32 s6, s14, s5
	v_lshlrev_b32_e32 v31, 2, v12
	v_add_co_ci_u32_e64 v12, null, s21, 0, s7
	s_mul_u64 s[20:21], s[14:15], s[14:15]
	s_wait_alu 0xfffe
	v_add3_u32 v10, s6, s3, v10
	v_mul_lo_u32 v21, s15, v9
	v_mad_co_u64_u32 v[17:18], null, s14, v9, 0
	v_add_co_u32 v19, s3, v11, 8
	s_delay_alu instid0(VALU_DEP_4)
	v_mul_lo_u32 v9, s14, v10
	v_cmp_lt_i64_e64 s28, s[24:25], s[22:23]
	s_wait_alu 0xf1ff
	v_add_co_ci_u32_e64 v20, null, 0, v12, s3
	s_cselect_b32 s3, -1, 0
	s_lshl_b64 s[18:19], s[18:19], 4
	s_and_b32 s27, vcc_lo, s2
	s_sub_nc_u64 s[6:7], s[22:23], s[12:13]
	v_add3_u32 v18, v18, v9, v21
	s_add_nc_u64 s[16:17], s[16:17], s[18:19]
	s_lshl_b64 s[18:19], s[14:15], 4
	s_branch .LBB97_8
.LBB97_7:                               ;   in Loop: Header=BB97_8 Depth=1
	s_wait_alu 0xfffe
	s_or_b32 exec_lo, exec_lo, s2
	v_add_co_u32 v13, vcc_lo, v13, 16
	s_wait_alu 0xfffd
	v_add_co_ci_u32_e64 v14, null, 0, v14, vcc_lo
	v_add_co_u32 v17, s2, v17, s18
	s_wait_alu 0xf1ff
	v_add_co_ci_u32_e64 v18, null, s19, v18, s2
	s_delay_alu instid0(VALU_DEP_3) | instskip(SKIP_1) | instid1(SALU_CYCLE_1)
	v_cmp_le_i64_e32 vcc_lo, s[14:15], v[13:14]
	s_or_b32 s26, vcc_lo, s26
	s_and_not1_b32 exec_lo, exec_lo, s26
	s_cbranch_execz .LBB97_24
.LBB97_8:                               ; =>This Loop Header: Depth=1
                                        ;     Child Loop BB97_12 Depth 2
                                        ;       Child Loop BB97_15 Depth 3
	v_mov_b32_e32 v9, 0
	v_dual_mov_b32 v10, 0 :: v_dual_mov_b32 v11, 0
	v_mov_b32_e32 v12, 0
	s_and_not1_b32 vcc_lo, exec_lo, s28
	s_wait_alu 0xfffe
	s_cbranch_vccnz .LBB97_19
; %bb.9:                                ;   in Loop: Header=BB97_8 Depth=1
	v_mov_b32_e32 v9, 0
	v_dual_mov_b32 v10, 0 :: v_dual_mov_b32 v11, 0
	v_mov_b32_e32 v12, 0
	s_wait_dscnt 0x2
	v_dual_mov_b32 v22, v18 :: v_dual_mov_b32 v21, v17
	s_mov_b64 s[22:23], s[4:5]
	s_branch .LBB97_12
.LBB97_10:                              ;   in Loop: Header=BB97_12 Depth=2
	s_or_b32 exec_lo, exec_lo, s30
.LBB97_11:                              ;   in Loop: Header=BB97_12 Depth=2
	s_delay_alu instid0(SALU_CYCLE_1)
	s_or_b32 exec_lo, exec_lo, s29
	s_wait_alu 0xfffe
	s_add_nc_u64 s[22:23], s[22:23], 1
	v_add_co_u32 v21, vcc_lo, v21, s20
	s_wait_alu 0xfffe
	v_cmp_ge_i64_e64 s2, s[22:23], s[6:7]
	s_wait_alu 0xfffd
	v_add_co_ci_u32_e64 v22, null, s21, v22, vcc_lo
	s_and_b32 vcc_lo, exec_lo, s2
	s_wait_alu 0xfffe
	s_cbranch_vccnz .LBB97_19
.LBB97_12:                              ;   Parent Loop BB97_8 Depth=1
                                        ; =>  This Loop Header: Depth=2
                                        ;       Child Loop BB97_15 Depth 3
	s_and_saveexec_b32 s29, s0
	s_cbranch_execz .LBB97_11
; %bb.13:                               ;   in Loop: Header=BB97_12 Depth=2
	s_wait_alu 0xfffe
	s_lshl_b64 s[24:25], s[22:23], 3
	v_dual_mov_b32 v26, v16 :: v_dual_mov_b32 v25, v15
	s_wait_alu 0xfffe
	s_add_nc_u64 s[24:25], s[8:9], s[24:25]
	s_mov_b32 s30, 0
	s_load_b64 s[24:25], s[24:25], 0x0
	s_wait_kmcnt 0x0
	s_sub_nc_u64 s[24:25], s[24:25], s[12:13]
	s_wait_dscnt 0x0
	s_wait_alu 0xfffe
	v_mad_co_u64_u32 v[23:24], null, s18, s24, v[19:20]
	s_mul_i32 s2, s19, s24
	s_mul_i32 s24, s18, s25
	s_wait_alu 0xfffe
	v_add3_u32 v24, s24, s2, v24
	s_mul_u64 s[24:25], s[22:23], s[14:15]
	s_branch .LBB97_15
.LBB97_14:                              ;   in Loop: Header=BB97_15 Depth=3
	s_delay_alu instid0(VALU_DEP_1) | instskip(NEXT) | instid1(VALU_DEP_1)
	v_lshlrev_b64_e32 v[27:28], 3, v[27:28]
	v_add_co_u32 v27, vcc_lo, s10, v27
	s_wait_alu 0xfffd
	s_delay_alu instid0(VALU_DEP_2)
	v_add_co_ci_u32_e64 v28, null, s11, v28, vcc_lo
	v_add_co_u32 v25, vcc_lo, v25, 16
	global_load_b128 v[32:35], v[23:24], off offset:-8
	global_load_b64 v[27:28], v[27:28], off
	s_wait_alu 0xfffd
	v_add_co_ci_u32_e64 v26, null, 0, v26, vcc_lo
	v_add_co_u32 v23, s2, 0x100, v23
	s_wait_alu 0xf1ff
	v_add_co_ci_u32_e64 v24, null, 0, v24, s2
	s_delay_alu instid0(VALU_DEP_3)
	v_cmp_le_i64_e32 vcc_lo, s[14:15], v[25:26]
	s_or_b32 s30, vcc_lo, s30
	s_wait_loadcnt 0x1
	v_fma_f64 v[9:10], v[32:33], 0, v[9:10]
	s_wait_loadcnt 0x0
	v_fma_f64 v[11:12], v[27:28], v[32:33], v[11:12]
	s_delay_alu instid0(VALU_DEP_2) | instskip(NEXT) | instid1(VALU_DEP_2)
	v_fma_f64 v[9:10], v[27:28], v[34:35], v[9:10]
	v_fma_f64 v[11:12], 0x80000000, v[34:35], v[11:12]
	s_and_not1_b32 exec_lo, exec_lo, s30
	s_cbranch_execz .LBB97_10
.LBB97_15:                              ;   Parent Loop BB97_8 Depth=1
                                        ;     Parent Loop BB97_12 Depth=2
                                        ; =>    This Inner Loop Header: Depth=3
	s_and_b32 vcc_lo, exec_lo, s3
	s_wait_alu 0xfffe
	s_cbranch_vccz .LBB97_17
; %bb.16:                               ;   in Loop: Header=BB97_15 Depth=3
	v_add_co_u32 v27, vcc_lo, v25, s24
	s_wait_alu 0xfffd
	v_add_co_ci_u32_e64 v28, null, s25, v26, vcc_lo
	s_delay_alu instid0(VALU_DEP_2) | instskip(NEXT) | instid1(VALU_DEP_2)
	v_mul_lo_u32 v32, v27, s15
	v_mul_lo_u32 v33, v28, s14
	v_mad_co_u64_u32 v[27:28], null, v27, s14, v[13:14]
	s_delay_alu instid0(VALU_DEP_1)
	v_add3_u32 v28, v33, v28, v32
	s_cbranch_execnz .LBB97_14
	s_branch .LBB97_18
.LBB97_17:                              ;   in Loop: Header=BB97_15 Depth=3
                                        ; implicit-def: $vgpr27_vgpr28
.LBB97_18:                              ;   in Loop: Header=BB97_15 Depth=3
	v_add_co_u32 v27, vcc_lo, v21, v25
	s_wait_alu 0xfffd
	v_add_co_ci_u32_e64 v28, null, v22, v26, vcc_lo
	s_branch .LBB97_14
.LBB97_19:                              ;   in Loop: Header=BB97_8 Depth=1
	s_wait_dscnt 0x3
	ds_bpermute_b32 v21, v0, v11
	s_wait_dscnt 0x3
	ds_bpermute_b32 v22, v0, v12
	;; [unrolled: 2-line block ×4, first 2 shown]
	s_wait_dscnt 0x2
	v_add_f64_e32 v[11:12], v[11:12], v[21:22]
	s_wait_dscnt 0x0
	v_add_f64_e32 v[9:10], v[9:10], v[23:24]
	ds_bpermute_b32 v21, v29, v11
	ds_bpermute_b32 v22, v29, v12
	ds_bpermute_b32 v23, v29, v9
	ds_bpermute_b32 v24, v29, v10
	s_wait_dscnt 0x2
	v_add_f64_e32 v[11:12], v[11:12], v[21:22]
	s_wait_dscnt 0x0
	v_add_f64_e32 v[21:22], v[9:10], v[23:24]
	ds_bpermute_b32 v9, v30, v11
	ds_bpermute_b32 v10, v30, v12
	ds_bpermute_b32 v23, v30, v21
	ds_bpermute_b32 v24, v30, v22
	;; [unrolled: 8-line block ×3, first 2 shown]
	s_and_saveexec_b32 s2, s1
	s_cbranch_execz .LBB97_7
; %bb.20:                               ;   in Loop: Header=BB97_8 Depth=1
	s_wait_dscnt 0x0
	v_add_f64_e32 v[11:12], v[11:12], v[23:24]
	v_add_f64_e32 v[21:22], v[9:10], v[21:22]
	s_delay_alu instid0(VALU_DEP_2) | instskip(SKIP_1) | instid1(VALU_DEP_2)
	v_mul_f64_e64 v[9:10], v[11:12], -v[3:4]
	v_mul_f64_e32 v[11:12], v[1:2], v[11:12]
	v_fma_f64 v[9:10], v[1:2], v[21:22], v[9:10]
	s_delay_alu instid0(VALU_DEP_2)
	v_fma_f64 v[11:12], v[3:4], v[21:22], v[11:12]
	v_lshlrev_b64_e32 v[21:22], 4, v[13:14]
	s_and_saveexec_b32 s22, s27
	s_wait_alu 0xfffe
	s_xor_b32 s22, exec_lo, s22
	s_cbranch_execz .LBB97_22
; %bb.21:                               ;   in Loop: Header=BB97_8 Depth=1
	s_delay_alu instid0(VALU_DEP_1)
	v_add_co_u32 v21, vcc_lo, s16, v21
	s_wait_alu 0xfffd
	v_add_co_ci_u32_e64 v22, null, s17, v22, vcc_lo
	global_store_b128 v[21:22], v[9:12], off
                                        ; implicit-def: $vgpr21_vgpr22
                                        ; implicit-def: $vgpr9_vgpr10
.LBB97_22:                              ;   in Loop: Header=BB97_8 Depth=1
	s_wait_alu 0xfffe
	s_and_not1_saveexec_b32 s22, s22
	s_cbranch_execz .LBB97_7
; %bb.23:                               ;   in Loop: Header=BB97_8 Depth=1
	v_add_co_u32 v25, vcc_lo, s16, v21
	s_wait_alu 0xfffd
	v_add_co_ci_u32_e64 v26, null, s17, v22, vcc_lo
	global_load_b128 v[21:24], v[25:26], off
	s_wait_loadcnt 0x0
	v_fma_f64 v[9:10], v[5:6], v[21:22], v[9:10]
	v_fma_f64 v[11:12], v[7:8], v[21:22], v[11:12]
	s_delay_alu instid0(VALU_DEP_2) | instskip(NEXT) | instid1(VALU_DEP_2)
	v_fma_f64 v[9:10], -v[7:8], v[23:24], v[9:10]
	v_fma_f64 v[11:12], v[5:6], v[23:24], v[11:12]
	global_store_b128 v[25:26], v[9:12], off
	s_branch .LBB97_7
.LBB97_24:
	s_endpgm
	.section	.rodata,"a",@progbits
	.p2align	6, 0x0
	.amdhsa_kernel _ZN9rocsparseL22bsrxmvn_general_kernelILj256ELj16E21rocsparse_complex_numIdElldS2_S2_EEv20rocsparse_direction_NS_24const_host_device_scalarIT1_EET3_PKS7_PKT2_SC_S9_PKT4_S7_PKT5_S6_PT6_21rocsparse_index_base_b
		.amdhsa_group_segment_fixed_size 0
		.amdhsa_private_segment_fixed_size 0
		.amdhsa_kernarg_size 120
		.amdhsa_user_sgpr_count 2
		.amdhsa_user_sgpr_dispatch_ptr 0
		.amdhsa_user_sgpr_queue_ptr 0
		.amdhsa_user_sgpr_kernarg_segment_ptr 1
		.amdhsa_user_sgpr_dispatch_id 0
		.amdhsa_user_sgpr_private_segment_size 0
		.amdhsa_wavefront_size32 1
		.amdhsa_uses_dynamic_stack 0
		.amdhsa_enable_private_segment 0
		.amdhsa_system_sgpr_workgroup_id_x 1
		.amdhsa_system_sgpr_workgroup_id_y 0
		.amdhsa_system_sgpr_workgroup_id_z 0
		.amdhsa_system_sgpr_workgroup_info 0
		.amdhsa_system_vgpr_workitem_id 0
		.amdhsa_next_free_vgpr 36
		.amdhsa_next_free_sgpr 31
		.amdhsa_reserve_vcc 1
		.amdhsa_float_round_mode_32 0
		.amdhsa_float_round_mode_16_64 0
		.amdhsa_float_denorm_mode_32 3
		.amdhsa_float_denorm_mode_16_64 3
		.amdhsa_fp16_overflow 0
		.amdhsa_workgroup_processor_mode 1
		.amdhsa_memory_ordered 1
		.amdhsa_forward_progress 1
		.amdhsa_inst_pref_size 13
		.amdhsa_round_robin_scheduling 0
		.amdhsa_exception_fp_ieee_invalid_op 0
		.amdhsa_exception_fp_denorm_src 0
		.amdhsa_exception_fp_ieee_div_zero 0
		.amdhsa_exception_fp_ieee_overflow 0
		.amdhsa_exception_fp_ieee_underflow 0
		.amdhsa_exception_fp_ieee_inexact 0
		.amdhsa_exception_int_div_zero 0
	.end_amdhsa_kernel
	.section	.text._ZN9rocsparseL22bsrxmvn_general_kernelILj256ELj16E21rocsparse_complex_numIdElldS2_S2_EEv20rocsparse_direction_NS_24const_host_device_scalarIT1_EET3_PKS7_PKT2_SC_S9_PKT4_S7_PKT5_S6_PT6_21rocsparse_index_base_b,"axG",@progbits,_ZN9rocsparseL22bsrxmvn_general_kernelILj256ELj16E21rocsparse_complex_numIdElldS2_S2_EEv20rocsparse_direction_NS_24const_host_device_scalarIT1_EET3_PKS7_PKT2_SC_S9_PKT4_S7_PKT5_S6_PT6_21rocsparse_index_base_b,comdat
.Lfunc_end97:
	.size	_ZN9rocsparseL22bsrxmvn_general_kernelILj256ELj16E21rocsparse_complex_numIdElldS2_S2_EEv20rocsparse_direction_NS_24const_host_device_scalarIT1_EET3_PKS7_PKT2_SC_S9_PKT4_S7_PKT5_S6_PT6_21rocsparse_index_base_b, .Lfunc_end97-_ZN9rocsparseL22bsrxmvn_general_kernelILj256ELj16E21rocsparse_complex_numIdElldS2_S2_EEv20rocsparse_direction_NS_24const_host_device_scalarIT1_EET3_PKS7_PKT2_SC_S9_PKT4_S7_PKT5_S6_PT6_21rocsparse_index_base_b
                                        ; -- End function
	.set _ZN9rocsparseL22bsrxmvn_general_kernelILj256ELj16E21rocsparse_complex_numIdElldS2_S2_EEv20rocsparse_direction_NS_24const_host_device_scalarIT1_EET3_PKS7_PKT2_SC_S9_PKT4_S7_PKT5_S6_PT6_21rocsparse_index_base_b.num_vgpr, 36
	.set _ZN9rocsparseL22bsrxmvn_general_kernelILj256ELj16E21rocsparse_complex_numIdElldS2_S2_EEv20rocsparse_direction_NS_24const_host_device_scalarIT1_EET3_PKS7_PKT2_SC_S9_PKT4_S7_PKT5_S6_PT6_21rocsparse_index_base_b.num_agpr, 0
	.set _ZN9rocsparseL22bsrxmvn_general_kernelILj256ELj16E21rocsparse_complex_numIdElldS2_S2_EEv20rocsparse_direction_NS_24const_host_device_scalarIT1_EET3_PKS7_PKT2_SC_S9_PKT4_S7_PKT5_S6_PT6_21rocsparse_index_base_b.numbered_sgpr, 31
	.set _ZN9rocsparseL22bsrxmvn_general_kernelILj256ELj16E21rocsparse_complex_numIdElldS2_S2_EEv20rocsparse_direction_NS_24const_host_device_scalarIT1_EET3_PKS7_PKT2_SC_S9_PKT4_S7_PKT5_S6_PT6_21rocsparse_index_base_b.num_named_barrier, 0
	.set _ZN9rocsparseL22bsrxmvn_general_kernelILj256ELj16E21rocsparse_complex_numIdElldS2_S2_EEv20rocsparse_direction_NS_24const_host_device_scalarIT1_EET3_PKS7_PKT2_SC_S9_PKT4_S7_PKT5_S6_PT6_21rocsparse_index_base_b.private_seg_size, 0
	.set _ZN9rocsparseL22bsrxmvn_general_kernelILj256ELj16E21rocsparse_complex_numIdElldS2_S2_EEv20rocsparse_direction_NS_24const_host_device_scalarIT1_EET3_PKS7_PKT2_SC_S9_PKT4_S7_PKT5_S6_PT6_21rocsparse_index_base_b.uses_vcc, 1
	.set _ZN9rocsparseL22bsrxmvn_general_kernelILj256ELj16E21rocsparse_complex_numIdElldS2_S2_EEv20rocsparse_direction_NS_24const_host_device_scalarIT1_EET3_PKS7_PKT2_SC_S9_PKT4_S7_PKT5_S6_PT6_21rocsparse_index_base_b.uses_flat_scratch, 0
	.set _ZN9rocsparseL22bsrxmvn_general_kernelILj256ELj16E21rocsparse_complex_numIdElldS2_S2_EEv20rocsparse_direction_NS_24const_host_device_scalarIT1_EET3_PKS7_PKT2_SC_S9_PKT4_S7_PKT5_S6_PT6_21rocsparse_index_base_b.has_dyn_sized_stack, 0
	.set _ZN9rocsparseL22bsrxmvn_general_kernelILj256ELj16E21rocsparse_complex_numIdElldS2_S2_EEv20rocsparse_direction_NS_24const_host_device_scalarIT1_EET3_PKS7_PKT2_SC_S9_PKT4_S7_PKT5_S6_PT6_21rocsparse_index_base_b.has_recursion, 0
	.set _ZN9rocsparseL22bsrxmvn_general_kernelILj256ELj16E21rocsparse_complex_numIdElldS2_S2_EEv20rocsparse_direction_NS_24const_host_device_scalarIT1_EET3_PKS7_PKT2_SC_S9_PKT4_S7_PKT5_S6_PT6_21rocsparse_index_base_b.has_indirect_call, 0
	.section	.AMDGPU.csdata,"",@progbits
; Kernel info:
; codeLenInByte = 1664
; TotalNumSgprs: 33
; NumVgprs: 36
; ScratchSize: 0
; MemoryBound: 0
; FloatMode: 240
; IeeeMode: 1
; LDSByteSize: 0 bytes/workgroup (compile time only)
; SGPRBlocks: 0
; VGPRBlocks: 4
; NumSGPRsForWavesPerEU: 33
; NumVGPRsForWavesPerEU: 36
; Occupancy: 16
; WaveLimiterHint : 0
; COMPUTE_PGM_RSRC2:SCRATCH_EN: 0
; COMPUTE_PGM_RSRC2:USER_SGPR: 2
; COMPUTE_PGM_RSRC2:TRAP_HANDLER: 0
; COMPUTE_PGM_RSRC2:TGID_X_EN: 1
; COMPUTE_PGM_RSRC2:TGID_Y_EN: 0
; COMPUTE_PGM_RSRC2:TGID_Z_EN: 0
; COMPUTE_PGM_RSRC2:TIDIG_COMP_CNT: 0
	.section	.text._ZN9rocsparseL22bsrxmvn_general_kernelILj1024ELj32E21rocsparse_complex_numIdElldS2_S2_EEv20rocsparse_direction_NS_24const_host_device_scalarIT1_EET3_PKS7_PKT2_SC_S9_PKT4_S7_PKT5_S6_PT6_21rocsparse_index_base_b,"axG",@progbits,_ZN9rocsparseL22bsrxmvn_general_kernelILj1024ELj32E21rocsparse_complex_numIdElldS2_S2_EEv20rocsparse_direction_NS_24const_host_device_scalarIT1_EET3_PKS7_PKT2_SC_S9_PKT4_S7_PKT5_S6_PT6_21rocsparse_index_base_b,comdat
	.globl	_ZN9rocsparseL22bsrxmvn_general_kernelILj1024ELj32E21rocsparse_complex_numIdElldS2_S2_EEv20rocsparse_direction_NS_24const_host_device_scalarIT1_EET3_PKS7_PKT2_SC_S9_PKT4_S7_PKT5_S6_PT6_21rocsparse_index_base_b ; -- Begin function _ZN9rocsparseL22bsrxmvn_general_kernelILj1024ELj32E21rocsparse_complex_numIdElldS2_S2_EEv20rocsparse_direction_NS_24const_host_device_scalarIT1_EET3_PKS7_PKT2_SC_S9_PKT4_S7_PKT5_S6_PT6_21rocsparse_index_base_b
	.p2align	8
	.type	_ZN9rocsparseL22bsrxmvn_general_kernelILj1024ELj32E21rocsparse_complex_numIdElldS2_S2_EEv20rocsparse_direction_NS_24const_host_device_scalarIT1_EET3_PKS7_PKT2_SC_S9_PKT4_S7_PKT5_S6_PT6_21rocsparse_index_base_b,@function
_ZN9rocsparseL22bsrxmvn_general_kernelILj1024ELj32E21rocsparse_complex_numIdElldS2_S2_EEv20rocsparse_direction_NS_24const_host_device_scalarIT1_EET3_PKS7_PKT2_SC_S9_PKT4_S7_PKT5_S6_PT6_21rocsparse_index_base_b: ; @_ZN9rocsparseL22bsrxmvn_general_kernelILj1024ELj32E21rocsparse_complex_numIdElldS2_S2_EEv20rocsparse_direction_NS_24const_host_device_scalarIT1_EET3_PKS7_PKT2_SC_S9_PKT4_S7_PKT5_S6_PT6_21rocsparse_index_base_b
; %bb.0:
	s_clause 0x1
	s_load_b64 s[12:13], s[0:1], 0x70
	s_load_b64 s[2:3], s[0:1], 0x8
	s_add_nc_u64 s[4:5], s[0:1], 8
	s_load_b64 s[6:7], s[0:1], 0x58
	s_wait_kmcnt 0x0
	s_bitcmp1_b32 s13, 0
	s_cselect_b32 s2, s4, s2
	s_cselect_b32 s3, s5, s3
	s_delay_alu instid0(SALU_CYCLE_1)
	v_dual_mov_b32 v1, s2 :: v_dual_mov_b32 v2, s3
	s_add_nc_u64 s[2:3], s[0:1], 0x58
	s_wait_alu 0xfffe
	s_cselect_b32 s2, s2, s6
	s_cselect_b32 s3, s3, s7
	flat_load_b128 v[1:4], v[1:2]
	s_wait_alu 0xfffe
	v_dual_mov_b32 v5, s2 :: v_dual_mov_b32 v6, s3
	flat_load_b128 v[5:8], v[5:6]
	s_wait_loadcnt_dscnt 0x101
	v_cmp_eq_f64_e32 vcc_lo, 0, v[1:2]
	v_cmp_eq_f64_e64 s2, 0, v[3:4]
	s_and_b32 s4, vcc_lo, s2
	s_mov_b32 s2, -1
	s_and_saveexec_b32 s3, s4
	s_cbranch_execz .LBB98_2
; %bb.1:
	s_wait_loadcnt_dscnt 0x0
	v_cmp_neq_f64_e32 vcc_lo, 1.0, v[5:6]
	v_cmp_neq_f64_e64 s2, 0, v[7:8]
	s_wait_alu 0xfffe
	s_or_b32 s2, vcc_lo, s2
	s_wait_alu 0xfffe
	s_or_not1_b32 s2, s2, exec_lo
.LBB98_2:
	s_wait_alu 0xfffe
	s_or_b32 exec_lo, exec_lo, s3
	s_and_saveexec_b32 s3, s2
	s_cbranch_execz .LBB98_24
; %bb.3:
	s_load_b64 s[2:3], s[0:1], 0x20
	s_mov_b32 s21, 0
	s_mov_b32 s20, ttmp9
	s_mov_b32 s13, s21
	s_wait_kmcnt 0x0
	s_cmp_eq_u64 s[2:3], 0
	s_cbranch_scc1 .LBB98_5
; %bb.4:
	s_lshl_b64 s[4:5], s[20:21], 3
	s_delay_alu instid0(SALU_CYCLE_1)
	s_add_nc_u64 s[2:3], s[2:3], s[4:5]
	s_load_b64 s[2:3], s[2:3], 0x0
	s_wait_kmcnt 0x0
	s_sub_nc_u64 s[20:21], s[2:3], s[12:13]
.LBB98_5:
	s_load_b64 s[14:15], s[0:1], 0x48
	v_lshrrev_b32_e32 v13, 5, v0
	v_mov_b32_e32 v14, 0
	s_wait_kmcnt 0x0
	s_delay_alu instid0(VALU_DEP_1)
	v_cmp_gt_i64_e32 vcc_lo, s[14:15], v[13:14]
	s_and_b32 exec_lo, exec_lo, vcc_lo
	s_cbranch_execz .LBB98_24
; %bb.6:
	s_clause 0x2
	s_load_b256 s[4:11], s[0:1], 0x28
	s_load_b64 s[16:17], s[0:1], 0x50
	s_load_b64 s[18:19], s[0:1], 0x68
	v_dual_mov_b32 v16, v14 :: v_dual_and_b32 v15, 31, v0
	v_mbcnt_lo_u32_b32 v0, -1, 0
	s_lshl_b64 s[22:23], s[20:21], 3
	s_wait_loadcnt_dscnt 0x0
	v_cmp_eq_f64_e32 vcc_lo, 0, v[5:6]
	v_cmp_eq_f64_e64 s2, 0, v[7:8]
	s_load_b32 s26, s[0:1], 0x0
	v_xor_b32_e32 v9, 16, v0
	v_xor_b32_e32 v10, 8, v0
	;; [unrolled: 1-line block ×5, first 2 shown]
	v_cmp_gt_i32_e64 s3, 32, v9
	v_lshlrev_b32_e32 v19, 4, v15
	s_mul_u64 s[20:21], s[20:21], s[14:15]
	v_cmp_gt_u64_e64 s0, s[14:15], v[15:16]
	v_cmp_eq_u32_e64 s1, 31, v15
	s_wait_kmcnt 0x0
	s_add_nc_u64 s[4:5], s[4:5], s[22:23]
	v_cndmask_b32_e64 v9, v0, v9, s3
	s_load_b64 s[24:25], s[4:5], 0x0
	v_cmp_gt_i32_e64 s3, 32, v10
	s_add_nc_u64 s[22:23], s[6:7], s[22:23]
	s_cmp_eq_u64 s[6:7], 0
	s_add_nc_u64 s[4:5], s[4:5], 8
	s_mov_b32 s28, 0
	s_wait_alu 0xf1ff
	v_cndmask_b32_e64 v10, v0, v10, s3
	v_cmp_gt_i32_e64 s3, 32, v11
	s_cselect_b32 s5, s5, s23
	s_cselect_b32 s4, s4, s22
	s_cmp_lg_u32 s26, 0
	s_load_b64 s[22:23], s[4:5], 0x0
	v_cndmask_b32_e64 v11, v0, v11, s3
	v_cmp_gt_i32_e64 s3, 32, v12
	v_lshlrev_b32_e32 v29, 2, v10
	s_delay_alu instid0(VALU_DEP_3) | instskip(SKIP_1) | instid1(VALU_DEP_3)
	v_lshlrev_b32_e32 v30, 2, v11
	s_wait_alu 0xf1ff
	v_cndmask_b32_e64 v12, v0, v12, s3
	v_cmp_gt_i32_e64 s3, 32, v17
	s_wait_kmcnt 0x0
	s_sub_nc_u64 s[4:5], s[24:25], s[12:13]
	s_delay_alu instid0(SALU_CYCLE_1)
	s_mul_i32 s6, s15, s4
	s_mul_i32 s7, s14, s5
	v_cndmask_b32_e64 v17, v0, v17, s3
	v_lshlrev_b32_e32 v0, 2, v9
	v_mad_co_u64_u32 v[9:10], null, s14, s4, v[13:14]
	s_cselect_b32 s3, -1, 0
	v_lshlrev_b32_e32 v32, 2, v17
	s_and_b32 s29, vcc_lo, s2
	v_lshlrev_b32_e32 v31, 2, v12
	v_cmp_lt_i64_e64 s30, s[24:25], s[22:23]
	s_lshl_b64 s[20:21], s[20:21], 4
	v_add3_u32 v10, s7, s6, v10
	v_mul_lo_u32 v11, s15, v9
	v_mad_co_u64_u32 v[17:18], null, s14, v9, 0
	s_sub_nc_u64 s[6:7], s[22:23], s[12:13]
	v_mul_lo_u32 v9, s14, v10
	v_add_co_u32 v10, s2, s16, v19
	s_wait_alu 0xf1ff
	v_add_co_ci_u32_e64 v12, null, s17, 0, s2
	s_add_nc_u64 s[16:17], s[18:19], s[20:21]
	v_add_co_u32 v19, vcc_lo, v10, 8
	s_delay_alu instid0(VALU_DEP_1)
	v_add_co_ci_u32_e64 v20, null, 0, v12, vcc_lo
	v_add3_u32 v18, v18, v9, v11
	s_lshl_b64 s[18:19], s[14:15], 4
	s_lshl_b64 s[20:21], s[14:15], 5
	s_mul_u64 s[22:23], s[14:15], s[14:15]
	s_branch .LBB98_8
.LBB98_7:                               ;   in Loop: Header=BB98_8 Depth=1
	s_wait_alu 0xfffe
	s_or_b32 exec_lo, exec_lo, s2
	v_add_co_u32 v13, vcc_lo, v13, 32
	s_wait_alu 0xfffd
	v_add_co_ci_u32_e64 v14, null, 0, v14, vcc_lo
	v_add_co_u32 v17, s2, v17, s20
	s_wait_alu 0xf1ff
	v_add_co_ci_u32_e64 v18, null, s21, v18, s2
	s_delay_alu instid0(VALU_DEP_3) | instskip(SKIP_1) | instid1(SALU_CYCLE_1)
	v_cmp_le_i64_e32 vcc_lo, s[14:15], v[13:14]
	s_or_b32 s28, vcc_lo, s28
	s_and_not1_b32 exec_lo, exec_lo, s28
	s_cbranch_execz .LBB98_24
.LBB98_8:                               ; =>This Loop Header: Depth=1
                                        ;     Child Loop BB98_12 Depth 2
                                        ;       Child Loop BB98_15 Depth 3
	v_mov_b32_e32 v9, 0
	v_dual_mov_b32 v10, 0 :: v_dual_mov_b32 v11, 0
	v_mov_b32_e32 v12, 0
	s_and_not1_b32 vcc_lo, exec_lo, s30
	s_wait_alu 0xfffe
	s_cbranch_vccnz .LBB98_19
; %bb.9:                                ;   in Loop: Header=BB98_8 Depth=1
	v_mov_b32_e32 v9, 0
	v_dual_mov_b32 v10, 0 :: v_dual_mov_b32 v11, 0
	v_mov_b32_e32 v12, 0
	s_wait_dscnt 0x2
	v_dual_mov_b32 v22, v18 :: v_dual_mov_b32 v21, v17
	s_mov_b64 s[24:25], s[4:5]
	s_branch .LBB98_12
.LBB98_10:                              ;   in Loop: Header=BB98_12 Depth=2
	s_or_b32 exec_lo, exec_lo, s33
.LBB98_11:                              ;   in Loop: Header=BB98_12 Depth=2
	s_delay_alu instid0(SALU_CYCLE_1)
	s_or_b32 exec_lo, exec_lo, s31
	s_wait_alu 0xfffe
	s_add_nc_u64 s[24:25], s[24:25], 1
	v_add_co_u32 v21, vcc_lo, v21, s22
	s_wait_alu 0xfffe
	v_cmp_ge_i64_e64 s2, s[24:25], s[6:7]
	s_wait_alu 0xfffd
	v_add_co_ci_u32_e64 v22, null, s23, v22, vcc_lo
	s_and_b32 vcc_lo, exec_lo, s2
	s_wait_alu 0xfffe
	s_cbranch_vccnz .LBB98_19
.LBB98_12:                              ;   Parent Loop BB98_8 Depth=1
                                        ; =>  This Loop Header: Depth=2
                                        ;       Child Loop BB98_15 Depth 3
	s_and_saveexec_b32 s31, s0
	s_cbranch_execz .LBB98_11
; %bb.13:                               ;   in Loop: Header=BB98_12 Depth=2
	s_wait_alu 0xfffe
	s_lshl_b64 s[26:27], s[24:25], 3
	v_dual_mov_b32 v26, v16 :: v_dual_mov_b32 v25, v15
	s_wait_alu 0xfffe
	s_add_nc_u64 s[26:27], s[8:9], s[26:27]
	s_mov_b32 s33, 0
	s_load_b64 s[26:27], s[26:27], 0x0
	s_wait_kmcnt 0x0
	s_sub_nc_u64 s[26:27], s[26:27], s[12:13]
	s_wait_dscnt 0x0
	s_wait_alu 0xfffe
	v_mad_co_u64_u32 v[23:24], null, s18, s26, v[19:20]
	s_mul_i32 s2, s19, s26
	s_mul_i32 s26, s18, s27
	s_wait_alu 0xfffe
	v_add3_u32 v24, s26, s2, v24
	s_mul_u64 s[26:27], s[24:25], s[14:15]
	s_branch .LBB98_15
.LBB98_14:                              ;   in Loop: Header=BB98_15 Depth=3
	s_delay_alu instid0(VALU_DEP_1) | instskip(NEXT) | instid1(VALU_DEP_1)
	v_lshlrev_b64_e32 v[27:28], 3, v[27:28]
	v_add_co_u32 v27, vcc_lo, s10, v27
	s_wait_alu 0xfffd
	s_delay_alu instid0(VALU_DEP_2)
	v_add_co_ci_u32_e64 v28, null, s11, v28, vcc_lo
	v_add_co_u32 v25, vcc_lo, v25, 32
	global_load_b128 v[33:36], v[23:24], off offset:-8
	global_load_b64 v[27:28], v[27:28], off
	s_wait_alu 0xfffd
	v_add_co_ci_u32_e64 v26, null, 0, v26, vcc_lo
	v_add_co_u32 v23, s2, 0x200, v23
	s_wait_alu 0xf1ff
	v_add_co_ci_u32_e64 v24, null, 0, v24, s2
	s_delay_alu instid0(VALU_DEP_3)
	v_cmp_le_i64_e32 vcc_lo, s[14:15], v[25:26]
	s_or_b32 s33, vcc_lo, s33
	s_wait_loadcnt 0x1
	v_fma_f64 v[9:10], v[33:34], 0, v[9:10]
	s_wait_loadcnt 0x0
	v_fma_f64 v[11:12], v[27:28], v[33:34], v[11:12]
	s_delay_alu instid0(VALU_DEP_2) | instskip(NEXT) | instid1(VALU_DEP_2)
	v_fma_f64 v[9:10], v[27:28], v[35:36], v[9:10]
	v_fma_f64 v[11:12], 0x80000000, v[35:36], v[11:12]
	s_and_not1_b32 exec_lo, exec_lo, s33
	s_cbranch_execz .LBB98_10
.LBB98_15:                              ;   Parent Loop BB98_8 Depth=1
                                        ;     Parent Loop BB98_12 Depth=2
                                        ; =>    This Inner Loop Header: Depth=3
	s_and_b32 vcc_lo, exec_lo, s3
	s_wait_alu 0xfffe
	s_cbranch_vccz .LBB98_17
; %bb.16:                               ;   in Loop: Header=BB98_15 Depth=3
	v_add_co_u32 v27, vcc_lo, v25, s26
	s_wait_alu 0xfffd
	v_add_co_ci_u32_e64 v28, null, s27, v26, vcc_lo
	s_delay_alu instid0(VALU_DEP_2) | instskip(NEXT) | instid1(VALU_DEP_2)
	v_mul_lo_u32 v33, v27, s15
	v_mul_lo_u32 v34, v28, s14
	v_mad_co_u64_u32 v[27:28], null, v27, s14, v[13:14]
	s_delay_alu instid0(VALU_DEP_1)
	v_add3_u32 v28, v34, v28, v33
	s_cbranch_execnz .LBB98_14
	s_branch .LBB98_18
.LBB98_17:                              ;   in Loop: Header=BB98_15 Depth=3
                                        ; implicit-def: $vgpr27_vgpr28
.LBB98_18:                              ;   in Loop: Header=BB98_15 Depth=3
	v_add_co_u32 v27, vcc_lo, v21, v25
	s_wait_alu 0xfffd
	v_add_co_ci_u32_e64 v28, null, v22, v26, vcc_lo
	s_branch .LBB98_14
.LBB98_19:                              ;   in Loop: Header=BB98_8 Depth=1
	s_wait_dscnt 0x3
	ds_bpermute_b32 v21, v0, v11
	s_wait_dscnt 0x3
	ds_bpermute_b32 v22, v0, v12
	;; [unrolled: 2-line block ×4, first 2 shown]
	s_wait_dscnt 0x2
	v_add_f64_e32 v[11:12], v[11:12], v[21:22]
	s_wait_dscnt 0x0
	v_add_f64_e32 v[9:10], v[9:10], v[23:24]
	ds_bpermute_b32 v21, v29, v11
	ds_bpermute_b32 v22, v29, v12
	ds_bpermute_b32 v23, v29, v9
	ds_bpermute_b32 v24, v29, v10
	s_wait_dscnt 0x2
	v_add_f64_e32 v[11:12], v[11:12], v[21:22]
	s_wait_dscnt 0x0
	v_add_f64_e32 v[9:10], v[9:10], v[23:24]
	ds_bpermute_b32 v21, v30, v11
	ds_bpermute_b32 v22, v30, v12
	ds_bpermute_b32 v23, v30, v9
	ds_bpermute_b32 v24, v30, v10
	;; [unrolled: 8-line block ×4, first 2 shown]
	s_and_saveexec_b32 s2, s1
	s_cbranch_execz .LBB98_7
; %bb.20:                               ;   in Loop: Header=BB98_8 Depth=1
	s_wait_dscnt 0x0
	v_add_f64_e32 v[11:12], v[11:12], v[23:24]
	v_add_f64_e32 v[21:22], v[9:10], v[21:22]
	s_delay_alu instid0(VALU_DEP_2) | instskip(SKIP_1) | instid1(VALU_DEP_2)
	v_mul_f64_e64 v[9:10], v[11:12], -v[3:4]
	v_mul_f64_e32 v[11:12], v[1:2], v[11:12]
	v_fma_f64 v[9:10], v[1:2], v[21:22], v[9:10]
	s_delay_alu instid0(VALU_DEP_2)
	v_fma_f64 v[11:12], v[3:4], v[21:22], v[11:12]
	v_lshlrev_b64_e32 v[21:22], 4, v[13:14]
	s_and_saveexec_b32 s24, s29
	s_wait_alu 0xfffe
	s_xor_b32 s24, exec_lo, s24
	s_cbranch_execz .LBB98_22
; %bb.21:                               ;   in Loop: Header=BB98_8 Depth=1
	s_delay_alu instid0(VALU_DEP_1)
	v_add_co_u32 v21, vcc_lo, s16, v21
	s_wait_alu 0xfffd
	v_add_co_ci_u32_e64 v22, null, s17, v22, vcc_lo
	global_store_b128 v[21:22], v[9:12], off
                                        ; implicit-def: $vgpr21_vgpr22
                                        ; implicit-def: $vgpr9_vgpr10
.LBB98_22:                              ;   in Loop: Header=BB98_8 Depth=1
	s_wait_alu 0xfffe
	s_and_not1_saveexec_b32 s24, s24
	s_cbranch_execz .LBB98_7
; %bb.23:                               ;   in Loop: Header=BB98_8 Depth=1
	v_add_co_u32 v25, vcc_lo, s16, v21
	s_wait_alu 0xfffd
	v_add_co_ci_u32_e64 v26, null, s17, v22, vcc_lo
	global_load_b128 v[21:24], v[25:26], off
	s_wait_loadcnt 0x0
	v_fma_f64 v[9:10], v[5:6], v[21:22], v[9:10]
	v_fma_f64 v[11:12], v[7:8], v[21:22], v[11:12]
	s_delay_alu instid0(VALU_DEP_2) | instskip(NEXT) | instid1(VALU_DEP_2)
	v_fma_f64 v[9:10], -v[7:8], v[23:24], v[9:10]
	v_fma_f64 v[11:12], v[5:6], v[23:24], v[11:12]
	global_store_b128 v[25:26], v[9:12], off
	s_branch .LBB98_7
.LBB98_24:
	s_endpgm
	.section	.rodata,"a",@progbits
	.p2align	6, 0x0
	.amdhsa_kernel _ZN9rocsparseL22bsrxmvn_general_kernelILj1024ELj32E21rocsparse_complex_numIdElldS2_S2_EEv20rocsparse_direction_NS_24const_host_device_scalarIT1_EET3_PKS7_PKT2_SC_S9_PKT4_S7_PKT5_S6_PT6_21rocsparse_index_base_b
		.amdhsa_group_segment_fixed_size 0
		.amdhsa_private_segment_fixed_size 0
		.amdhsa_kernarg_size 120
		.amdhsa_user_sgpr_count 2
		.amdhsa_user_sgpr_dispatch_ptr 0
		.amdhsa_user_sgpr_queue_ptr 0
		.amdhsa_user_sgpr_kernarg_segment_ptr 1
		.amdhsa_user_sgpr_dispatch_id 0
		.amdhsa_user_sgpr_private_segment_size 0
		.amdhsa_wavefront_size32 1
		.amdhsa_uses_dynamic_stack 0
		.amdhsa_enable_private_segment 0
		.amdhsa_system_sgpr_workgroup_id_x 1
		.amdhsa_system_sgpr_workgroup_id_y 0
		.amdhsa_system_sgpr_workgroup_id_z 0
		.amdhsa_system_sgpr_workgroup_info 0
		.amdhsa_system_vgpr_workitem_id 0
		.amdhsa_next_free_vgpr 37
		.amdhsa_next_free_sgpr 34
		.amdhsa_reserve_vcc 1
		.amdhsa_float_round_mode_32 0
		.amdhsa_float_round_mode_16_64 0
		.amdhsa_float_denorm_mode_32 3
		.amdhsa_float_denorm_mode_16_64 3
		.amdhsa_fp16_overflow 0
		.amdhsa_workgroup_processor_mode 1
		.amdhsa_memory_ordered 1
		.amdhsa_forward_progress 1
		.amdhsa_inst_pref_size 14
		.amdhsa_round_robin_scheduling 0
		.amdhsa_exception_fp_ieee_invalid_op 0
		.amdhsa_exception_fp_denorm_src 0
		.amdhsa_exception_fp_ieee_div_zero 0
		.amdhsa_exception_fp_ieee_overflow 0
		.amdhsa_exception_fp_ieee_underflow 0
		.amdhsa_exception_fp_ieee_inexact 0
		.amdhsa_exception_int_div_zero 0
	.end_amdhsa_kernel
	.section	.text._ZN9rocsparseL22bsrxmvn_general_kernelILj1024ELj32E21rocsparse_complex_numIdElldS2_S2_EEv20rocsparse_direction_NS_24const_host_device_scalarIT1_EET3_PKS7_PKT2_SC_S9_PKT4_S7_PKT5_S6_PT6_21rocsparse_index_base_b,"axG",@progbits,_ZN9rocsparseL22bsrxmvn_general_kernelILj1024ELj32E21rocsparse_complex_numIdElldS2_S2_EEv20rocsparse_direction_NS_24const_host_device_scalarIT1_EET3_PKS7_PKT2_SC_S9_PKT4_S7_PKT5_S6_PT6_21rocsparse_index_base_b,comdat
.Lfunc_end98:
	.size	_ZN9rocsparseL22bsrxmvn_general_kernelILj1024ELj32E21rocsparse_complex_numIdElldS2_S2_EEv20rocsparse_direction_NS_24const_host_device_scalarIT1_EET3_PKS7_PKT2_SC_S9_PKT4_S7_PKT5_S6_PT6_21rocsparse_index_base_b, .Lfunc_end98-_ZN9rocsparseL22bsrxmvn_general_kernelILj1024ELj32E21rocsparse_complex_numIdElldS2_S2_EEv20rocsparse_direction_NS_24const_host_device_scalarIT1_EET3_PKS7_PKT2_SC_S9_PKT4_S7_PKT5_S6_PT6_21rocsparse_index_base_b
                                        ; -- End function
	.set _ZN9rocsparseL22bsrxmvn_general_kernelILj1024ELj32E21rocsparse_complex_numIdElldS2_S2_EEv20rocsparse_direction_NS_24const_host_device_scalarIT1_EET3_PKS7_PKT2_SC_S9_PKT4_S7_PKT5_S6_PT6_21rocsparse_index_base_b.num_vgpr, 37
	.set _ZN9rocsparseL22bsrxmvn_general_kernelILj1024ELj32E21rocsparse_complex_numIdElldS2_S2_EEv20rocsparse_direction_NS_24const_host_device_scalarIT1_EET3_PKS7_PKT2_SC_S9_PKT4_S7_PKT5_S6_PT6_21rocsparse_index_base_b.num_agpr, 0
	.set _ZN9rocsparseL22bsrxmvn_general_kernelILj1024ELj32E21rocsparse_complex_numIdElldS2_S2_EEv20rocsparse_direction_NS_24const_host_device_scalarIT1_EET3_PKS7_PKT2_SC_S9_PKT4_S7_PKT5_S6_PT6_21rocsparse_index_base_b.numbered_sgpr, 34
	.set _ZN9rocsparseL22bsrxmvn_general_kernelILj1024ELj32E21rocsparse_complex_numIdElldS2_S2_EEv20rocsparse_direction_NS_24const_host_device_scalarIT1_EET3_PKS7_PKT2_SC_S9_PKT4_S7_PKT5_S6_PT6_21rocsparse_index_base_b.num_named_barrier, 0
	.set _ZN9rocsparseL22bsrxmvn_general_kernelILj1024ELj32E21rocsparse_complex_numIdElldS2_S2_EEv20rocsparse_direction_NS_24const_host_device_scalarIT1_EET3_PKS7_PKT2_SC_S9_PKT4_S7_PKT5_S6_PT6_21rocsparse_index_base_b.private_seg_size, 0
	.set _ZN9rocsparseL22bsrxmvn_general_kernelILj1024ELj32E21rocsparse_complex_numIdElldS2_S2_EEv20rocsparse_direction_NS_24const_host_device_scalarIT1_EET3_PKS7_PKT2_SC_S9_PKT4_S7_PKT5_S6_PT6_21rocsparse_index_base_b.uses_vcc, 1
	.set _ZN9rocsparseL22bsrxmvn_general_kernelILj1024ELj32E21rocsparse_complex_numIdElldS2_S2_EEv20rocsparse_direction_NS_24const_host_device_scalarIT1_EET3_PKS7_PKT2_SC_S9_PKT4_S7_PKT5_S6_PT6_21rocsparse_index_base_b.uses_flat_scratch, 0
	.set _ZN9rocsparseL22bsrxmvn_general_kernelILj1024ELj32E21rocsparse_complex_numIdElldS2_S2_EEv20rocsparse_direction_NS_24const_host_device_scalarIT1_EET3_PKS7_PKT2_SC_S9_PKT4_S7_PKT5_S6_PT6_21rocsparse_index_base_b.has_dyn_sized_stack, 0
	.set _ZN9rocsparseL22bsrxmvn_general_kernelILj1024ELj32E21rocsparse_complex_numIdElldS2_S2_EEv20rocsparse_direction_NS_24const_host_device_scalarIT1_EET3_PKS7_PKT2_SC_S9_PKT4_S7_PKT5_S6_PT6_21rocsparse_index_base_b.has_recursion, 0
	.set _ZN9rocsparseL22bsrxmvn_general_kernelILj1024ELj32E21rocsparse_complex_numIdElldS2_S2_EEv20rocsparse_direction_NS_24const_host_device_scalarIT1_EET3_PKS7_PKT2_SC_S9_PKT4_S7_PKT5_S6_PT6_21rocsparse_index_base_b.has_indirect_call, 0
	.section	.AMDGPU.csdata,"",@progbits
; Kernel info:
; codeLenInByte = 1744
; TotalNumSgprs: 36
; NumVgprs: 37
; ScratchSize: 0
; MemoryBound: 0
; FloatMode: 240
; IeeeMode: 1
; LDSByteSize: 0 bytes/workgroup (compile time only)
; SGPRBlocks: 0
; VGPRBlocks: 4
; NumSGPRsForWavesPerEU: 36
; NumVGPRsForWavesPerEU: 37
; Occupancy: 16
; WaveLimiterHint : 0
; COMPUTE_PGM_RSRC2:SCRATCH_EN: 0
; COMPUTE_PGM_RSRC2:USER_SGPR: 2
; COMPUTE_PGM_RSRC2:TRAP_HANDLER: 0
; COMPUTE_PGM_RSRC2:TGID_X_EN: 1
; COMPUTE_PGM_RSRC2:TGID_Y_EN: 0
; COMPUTE_PGM_RSRC2:TGID_Z_EN: 0
; COMPUTE_PGM_RSRC2:TIDIG_COMP_CNT: 0
	.section	.text._ZN9rocsparseL22bsrxmvn_general_kernelILj64ELj8E21rocsparse_complex_numIdEiiS1_IfES2_S2_EEv20rocsparse_direction_NS_24const_host_device_scalarIT1_EET3_PKS8_PKT2_SD_SA_PKT4_S8_PKT5_S7_PT6_21rocsparse_index_base_b,"axG",@progbits,_ZN9rocsparseL22bsrxmvn_general_kernelILj64ELj8E21rocsparse_complex_numIdEiiS1_IfES2_S2_EEv20rocsparse_direction_NS_24const_host_device_scalarIT1_EET3_PKS8_PKT2_SD_SA_PKT4_S8_PKT5_S7_PT6_21rocsparse_index_base_b,comdat
	.globl	_ZN9rocsparseL22bsrxmvn_general_kernelILj64ELj8E21rocsparse_complex_numIdEiiS1_IfES2_S2_EEv20rocsparse_direction_NS_24const_host_device_scalarIT1_EET3_PKS8_PKT2_SD_SA_PKT4_S8_PKT5_S7_PT6_21rocsparse_index_base_b ; -- Begin function _ZN9rocsparseL22bsrxmvn_general_kernelILj64ELj8E21rocsparse_complex_numIdEiiS1_IfES2_S2_EEv20rocsparse_direction_NS_24const_host_device_scalarIT1_EET3_PKS8_PKT2_SD_SA_PKT4_S8_PKT5_S7_PT6_21rocsparse_index_base_b
	.p2align	8
	.type	_ZN9rocsparseL22bsrxmvn_general_kernelILj64ELj8E21rocsparse_complex_numIdEiiS1_IfES2_S2_EEv20rocsparse_direction_NS_24const_host_device_scalarIT1_EET3_PKS8_PKT2_SD_SA_PKT4_S8_PKT5_S7_PT6_21rocsparse_index_base_b,@function
_ZN9rocsparseL22bsrxmvn_general_kernelILj64ELj8E21rocsparse_complex_numIdEiiS1_IfES2_S2_EEv20rocsparse_direction_NS_24const_host_device_scalarIT1_EET3_PKS8_PKT2_SD_SA_PKT4_S8_PKT5_S7_PT6_21rocsparse_index_base_b: ; @_ZN9rocsparseL22bsrxmvn_general_kernelILj64ELj8E21rocsparse_complex_numIdEiiS1_IfES2_S2_EEv20rocsparse_direction_NS_24const_host_device_scalarIT1_EET3_PKS8_PKT2_SD_SA_PKT4_S8_PKT5_S7_PT6_21rocsparse_index_base_b
; %bb.0:
	s_clause 0x1
	s_load_b64 s[12:13], s[0:1], 0x70
	s_load_b64 s[2:3], s[0:1], 0x8
	s_add_nc_u64 s[4:5], s[0:1], 8
	s_load_b64 s[6:7], s[0:1], 0x58
	s_wait_kmcnt 0x0
	s_bitcmp1_b32 s13, 0
	s_cselect_b32 s2, s4, s2
	s_cselect_b32 s3, s5, s3
	s_delay_alu instid0(SALU_CYCLE_1)
	v_dual_mov_b32 v1, s2 :: v_dual_mov_b32 v2, s3
	s_add_nc_u64 s[2:3], s[0:1], 0x58
	s_wait_alu 0xfffe
	s_cselect_b32 s2, s2, s6
	s_cselect_b32 s3, s3, s7
	flat_load_b128 v[1:4], v[1:2]
	s_wait_alu 0xfffe
	v_dual_mov_b32 v5, s2 :: v_dual_mov_b32 v6, s3
	flat_load_b128 v[5:8], v[5:6]
	s_wait_loadcnt_dscnt 0x101
	v_cmp_eq_f64_e32 vcc_lo, 0, v[1:2]
	v_cmp_eq_f64_e64 s2, 0, v[3:4]
	s_and_b32 s4, vcc_lo, s2
	s_mov_b32 s2, -1
	s_and_saveexec_b32 s3, s4
	s_cbranch_execz .LBB99_2
; %bb.1:
	s_wait_loadcnt_dscnt 0x0
	v_cmp_neq_f64_e32 vcc_lo, 1.0, v[5:6]
	v_cmp_neq_f64_e64 s2, 0, v[7:8]
	s_wait_alu 0xfffe
	s_or_b32 s2, vcc_lo, s2
	s_wait_alu 0xfffe
	s_or_not1_b32 s2, s2, exec_lo
.LBB99_2:
	s_wait_alu 0xfffe
	s_or_b32 exec_lo, exec_lo, s3
	s_and_saveexec_b32 s3, s2
	s_cbranch_execz .LBB99_25
; %bb.3:
	s_load_b64 s[2:3], s[0:1], 0x20
	s_wait_kmcnt 0x0
	s_cmp_eq_u64 s[2:3], 0
	s_cbranch_scc1 .LBB99_5
; %bb.4:
	s_mov_b32 s4, ttmp9
	s_ashr_i32 s5, ttmp9, 31
	s_delay_alu instid0(SALU_CYCLE_1) | instskip(NEXT) | instid1(SALU_CYCLE_1)
	s_lshl_b64 s[4:5], s[4:5], 2
	s_add_nc_u64 s[2:3], s[2:3], s[4:5]
	s_load_b32 s2, s[2:3], 0x0
	s_wait_kmcnt 0x0
	s_sub_co_i32 s20, s2, s12
	s_branch .LBB99_6
.LBB99_5:
	s_mov_b32 s20, ttmp9
.LBB99_6:
	s_load_b32 s14, s[0:1], 0x48
	v_lshrrev_b32_e32 v13, 3, v0
	s_wait_kmcnt 0x0
	s_delay_alu instid0(VALU_DEP_1)
	v_cmp_gt_i32_e32 vcc_lo, s14, v13
	s_and_b32 exec_lo, exec_lo, vcc_lo
	s_cbranch_execz .LBB99_25
; %bb.7:
	s_load_b256 s[4:11], s[0:1], 0x28
	s_ashr_i32 s21, s20, 31
	s_wait_loadcnt_dscnt 0x0
	v_cmp_eq_f64_e32 vcc_lo, 0, v[5:6]
	s_lshl_b64 s[18:19], s[20:21], 2
	v_cmp_eq_f64_e64 s2, 0, v[7:8]
	v_mbcnt_lo_u32_b32 v9, -1, 0
	s_load_b32 s24, s[0:1], 0x0
	v_dual_mov_b32 v14, 0 :: v_dual_and_b32 v15, 7, v0
	v_mul_lo_u32 v0, s14, v13
	s_delay_alu instid0(VALU_DEP_3)
	v_xor_b32_e32 v10, 4, v9
	v_xor_b32_e32 v11, 2, v9
	;; [unrolled: 1-line block ×3, first 2 shown]
	v_mul_lo_u32 v23, s14, v15
	s_mov_b32 s15, 0
	v_cmp_gt_i32_e64 s3, 32, v10
	s_mul_i32 s13, s20, s14
	v_cndmask_b32_e64 v10, v9, v10, s3
	s_wait_kmcnt 0x0
	s_add_nc_u64 s[22:23], s[4:5], s[18:19]
	s_load_b32 s21, s[22:23], 0x0
	s_clause 0x1
	s_load_b64 s[4:5], s[0:1], 0x68
	s_load_b64 s[16:17], s[0:1], 0x50
	s_add_nc_u64 s[0:1], s[6:7], s[18:19]
	s_add_nc_u64 s[22:23], s[22:23], 4
	v_cmp_gt_i32_e64 s3, 32, v11
	v_lshlrev_b32_e32 v24, 2, v10
	s_wait_alu 0xf1ff
	s_delay_alu instid0(VALU_DEP_2) | instskip(SKIP_1) | instid1(VALU_DEP_2)
	v_cndmask_b32_e64 v11, v9, v11, s3
	v_cmp_gt_i32_e64 s3, 32, v12
	v_dual_mov_b32 v16, v14 :: v_dual_lshlrev_b32 v25, 2, v11
	s_wait_alu 0xf1ff
	s_delay_alu instid0(VALU_DEP_2) | instskip(SKIP_3) | instid1(VALU_DEP_1)
	v_cndmask_b32_e64 v9, v9, v12, s3
	s_wait_kmcnt 0x0
	s_sub_co_i32 s18, s21, s12
	s_cmp_eq_u64 s[6:7], 0
	v_lshlrev_b32_e32 v26, 2, v9
	s_cselect_b32 s1, s23, s1
	s_cselect_b32 s0, s22, s0
	s_mul_u64 s[6:7], s[14:15], s[14:15]
	s_load_b32 s19, s[0:1], 0x0
	v_cmp_gt_u32_e64 s0, s14, v15
	v_cmp_eq_u32_e64 s1, 7, v15
	s_wait_kmcnt 0x0
	s_sub_co_i32 s22, s19, s12
	s_cmp_lt_i32 s21, s19
	s_cselect_b32 s23, -1, 0
	s_cmp_lg_u32 s24, 0
	s_cselect_b32 s24, -1, 0
	s_ashr_i32 s19, s18, 31
	s_and_b32 s25, vcc_lo, s2
	s_mul_u64 s[2:3], s[18:19], s[6:7]
	s_lshl_b32 s19, s14, 3
	s_branch .LBB99_9
.LBB99_8:                               ;   in Loop: Header=BB99_9 Depth=1
	s_wait_alu 0xfffe
	s_or_b32 exec_lo, exec_lo, s20
	v_add_nc_u32_e32 v13, 8, v13
	v_add_nc_u32_e32 v0, s19, v0
	s_delay_alu instid0(VALU_DEP_2)
	v_cmp_le_i32_e32 vcc_lo, s14, v13
	s_or_b32 s15, vcc_lo, s15
	s_wait_alu 0xfffe
	s_and_not1_b32 exec_lo, exec_lo, s15
	s_cbranch_execz .LBB99_25
.LBB99_9:                               ; =>This Loop Header: Depth=1
                                        ;     Child Loop BB99_13 Depth 2
                                        ;       Child Loop BB99_16 Depth 3
	v_mov_b32_e32 v9, 0
	v_dual_mov_b32 v10, 0 :: v_dual_mov_b32 v11, 0
	v_mov_b32_e32 v12, 0
	s_and_not1_b32 vcc_lo, exec_lo, s23
	s_wait_alu 0xfffe
	s_cbranch_vccnz .LBB99_20
; %bb.10:                               ;   in Loop: Header=BB99_9 Depth=1
	s_wait_dscnt 0x3
	v_ashrrev_i32_e32 v17, 31, v0
	v_mov_b32_e32 v9, 0
	v_add_co_u32 v27, vcc_lo, s2, v0
	v_dual_mov_b32 v10, 0 :: v_dual_mov_b32 v11, 0
	v_mov_b32_e32 v12, 0
	s_wait_alu 0xfffd
	v_add_co_ci_u32_e64 v28, null, s3, v17, vcc_lo
	s_mov_b32 s20, s18
	s_branch .LBB99_13
.LBB99_11:                              ;   in Loop: Header=BB99_13 Depth=2
	s_or_b32 exec_lo, exec_lo, s21
.LBB99_12:                              ;   in Loop: Header=BB99_13 Depth=2
	s_wait_alu 0xfffe
	s_or_b32 exec_lo, exec_lo, s26
	v_add_co_u32 v27, vcc_lo, v27, s6
	s_wait_alu 0xfffd
	v_add_co_ci_u32_e64 v28, null, s7, v28, vcc_lo
	s_add_co_i32 s20, s20, 1
	s_wait_alu 0xfffe
	s_cmp_ge_i32 s20, s22
	s_cbranch_scc1 .LBB99_20
.LBB99_13:                              ;   Parent Loop BB99_9 Depth=1
                                        ; =>  This Loop Header: Depth=2
                                        ;       Child Loop BB99_16 Depth 3
	s_and_saveexec_b32 s26, s0
	s_cbranch_execz .LBB99_12
; %bb.14:                               ;   in Loop: Header=BB99_13 Depth=2
	s_wait_alu 0xfffe
	s_ashr_i32 s21, s20, 31
	s_wait_dscnt 0x2
	v_mad_co_u64_u32 v[17:18], null, s6, s20, v[13:14]
	s_wait_alu 0xfffe
	s_lshl_b64 s[28:29], s[20:21], 2
	s_mul_i32 s21, s6, s21
	s_wait_alu 0xfffe
	s_add_nc_u64 s[28:29], s[8:9], s[28:29]
	s_wait_dscnt 0x0
	v_dual_mov_b32 v29, v23 :: v_dual_mov_b32 v20, v16
	s_load_b32 s27, s[28:29], 0x0
	s_mul_i32 s28, s7, s20
	v_mov_b32_e32 v19, v15
	s_wait_alu 0xfffe
	v_add3_u32 v18, s21, s28, v18
	s_wait_kmcnt 0x0
	s_sub_co_i32 s21, s27, s12
	s_wait_alu 0xfffe
	s_mul_i32 s27, s21, s14
	s_mov_b32 s21, 0
	s_branch .LBB99_16
.LBB99_15:                              ;   in Loop: Header=BB99_16 Depth=3
	s_delay_alu instid0(VALU_DEP_1) | instskip(SKIP_2) | instid1(VALU_DEP_2)
	v_lshlrev_b64_e32 v[21:22], 3, v[21:22]
	v_add_nc_u32_e32 v30, s27, v19
	v_add_nc_u32_e32 v29, s19, v29
	v_ashrrev_i32_e32 v31, 31, v30
	s_delay_alu instid0(VALU_DEP_4) | instskip(SKIP_2) | instid1(VALU_DEP_3)
	v_add_co_u32 v21, vcc_lo, s10, v21
	s_wait_alu 0xfffd
	v_add_co_ci_u32_e64 v22, null, s11, v22, vcc_lo
	v_lshlrev_b64_e32 v[30:31], 4, v[30:31]
	global_load_b64 v[21:22], v[21:22], off
	v_add_co_u32 v30, vcc_lo, s16, v30
	s_wait_alu 0xfffd
	v_add_co_ci_u32_e64 v31, null, s17, v31, vcc_lo
	v_add_co_u32 v19, vcc_lo, v19, 8
	s_wait_alu 0xfffd
	v_add_co_ci_u32_e64 v20, null, 0, v20, vcc_lo
	global_load_b128 v[30:33], v[30:31], off
	v_cmp_le_i32_e32 vcc_lo, s14, v19
	s_or_b32 s21, vcc_lo, s21
	s_wait_loadcnt 0x1
	v_cvt_f64_f32_e32 v[34:35], v21
	v_cvt_f64_f32_e32 v[21:22], v22
	s_wait_loadcnt 0x0
	s_delay_alu instid0(VALU_DEP_2) | instskip(NEXT) | instid1(VALU_DEP_2)
	v_fma_f64 v[11:12], v[34:35], v[30:31], v[11:12]
	v_fma_f64 v[9:10], v[21:22], v[30:31], v[9:10]
	s_delay_alu instid0(VALU_DEP_2) | instskip(NEXT) | instid1(VALU_DEP_2)
	v_fma_f64 v[11:12], -v[21:22], v[32:33], v[11:12]
	v_fma_f64 v[9:10], v[34:35], v[32:33], v[9:10]
	s_wait_alu 0xfffe
	s_and_not1_b32 exec_lo, exec_lo, s21
	s_cbranch_execz .LBB99_11
.LBB99_16:                              ;   Parent Loop BB99_9 Depth=1
                                        ;     Parent Loop BB99_13 Depth=2
                                        ; =>    This Inner Loop Header: Depth=3
	s_and_b32 vcc_lo, exec_lo, s24
	s_wait_alu 0xfffe
	s_cbranch_vccz .LBB99_18
; %bb.17:                               ;   in Loop: Header=BB99_16 Depth=3
	v_ashrrev_i32_e32 v22, 31, v29
	v_add_co_u32 v21, vcc_lo, v17, v29
	s_wait_alu 0xfffd
	s_delay_alu instid0(VALU_DEP_2)
	v_add_co_ci_u32_e64 v22, null, v18, v22, vcc_lo
	s_cbranch_execnz .LBB99_15
	s_branch .LBB99_19
.LBB99_18:                              ;   in Loop: Header=BB99_16 Depth=3
                                        ; implicit-def: $vgpr21_vgpr22
.LBB99_19:                              ;   in Loop: Header=BB99_16 Depth=3
	v_add_co_u32 v21, vcc_lo, v27, v19
	s_wait_alu 0xfffd
	v_add_co_ci_u32_e64 v22, null, v28, v20, vcc_lo
	s_branch .LBB99_15
.LBB99_20:                              ;   in Loop: Header=BB99_9 Depth=1
	s_wait_dscnt 0x3
	ds_bpermute_b32 v17, v24, v11
	s_wait_dscnt 0x3
	ds_bpermute_b32 v18, v24, v12
	;; [unrolled: 2-line block ×4, first 2 shown]
	s_wait_dscnt 0x2
	v_add_f64_e32 v[11:12], v[11:12], v[17:18]
	s_wait_dscnt 0x0
	v_add_f64_e32 v[17:18], v[9:10], v[19:20]
	ds_bpermute_b32 v9, v25, v11
	ds_bpermute_b32 v10, v25, v12
	ds_bpermute_b32 v19, v25, v17
	ds_bpermute_b32 v20, v25, v18
	s_wait_dscnt 0x2
	v_add_f64_e32 v[9:10], v[11:12], v[9:10]
	s_wait_dscnt 0x0
	v_add_f64_e32 v[11:12], v[17:18], v[19:20]
	ds_bpermute_b32 v17, v26, v9
	ds_bpermute_b32 v18, v26, v10
	;; [unrolled: 1-line block ×4, first 2 shown]
	s_and_saveexec_b32 s20, s1
	s_cbranch_execz .LBB99_8
; %bb.21:                               ;   in Loop: Header=BB99_9 Depth=1
	s_wait_dscnt 0x0
	v_add_f64_e32 v[11:12], v[11:12], v[19:20]
	v_add_f64_e32 v[17:18], v[9:10], v[17:18]
	s_delay_alu instid0(VALU_DEP_2) | instskip(SKIP_1) | instid1(VALU_DEP_2)
	v_mul_f64_e64 v[9:10], v[11:12], -v[3:4]
	v_mul_f64_e32 v[11:12], v[1:2], v[11:12]
	v_fma_f64 v[9:10], v[1:2], v[17:18], v[9:10]
	s_delay_alu instid0(VALU_DEP_2) | instskip(SKIP_1) | instid1(VALU_DEP_1)
	v_fma_f64 v[11:12], v[3:4], v[17:18], v[11:12]
	v_add_nc_u32_e32 v17, s13, v13
	v_ashrrev_i32_e32 v18, 31, v17
	s_and_saveexec_b32 s21, s25
	s_wait_alu 0xfffe
	s_xor_b32 s21, exec_lo, s21
	s_cbranch_execz .LBB99_23
; %bb.22:                               ;   in Loop: Header=BB99_9 Depth=1
	v_lshlrev_b64_e32 v[17:18], 4, v[17:18]
	s_delay_alu instid0(VALU_DEP_1) | instskip(SKIP_1) | instid1(VALU_DEP_2)
	v_add_co_u32 v17, vcc_lo, s4, v17
	s_wait_alu 0xfffd
	v_add_co_ci_u32_e64 v18, null, s5, v18, vcc_lo
	global_store_b128 v[17:18], v[9:12], off
                                        ; implicit-def: $vgpr17
                                        ; implicit-def: $vgpr9_vgpr10
.LBB99_23:                              ;   in Loop: Header=BB99_9 Depth=1
	s_wait_alu 0xfffe
	s_and_not1_saveexec_b32 s21, s21
	s_cbranch_execz .LBB99_8
; %bb.24:                               ;   in Loop: Header=BB99_9 Depth=1
	v_lshlrev_b64_e32 v[17:18], 4, v[17:18]
	s_delay_alu instid0(VALU_DEP_1) | instskip(SKIP_1) | instid1(VALU_DEP_2)
	v_add_co_u32 v21, vcc_lo, s4, v17
	s_wait_alu 0xfffd
	v_add_co_ci_u32_e64 v22, null, s5, v18, vcc_lo
	global_load_b128 v[17:20], v[21:22], off
	s_wait_loadcnt 0x0
	v_fma_f64 v[9:10], v[5:6], v[17:18], v[9:10]
	v_fma_f64 v[11:12], v[7:8], v[17:18], v[11:12]
	s_delay_alu instid0(VALU_DEP_2) | instskip(NEXT) | instid1(VALU_DEP_2)
	v_fma_f64 v[9:10], -v[7:8], v[19:20], v[9:10]
	v_fma_f64 v[11:12], v[5:6], v[19:20], v[11:12]
	global_store_b128 v[21:22], v[9:12], off
	s_branch .LBB99_8
.LBB99_25:
	s_endpgm
	.section	.rodata,"a",@progbits
	.p2align	6, 0x0
	.amdhsa_kernel _ZN9rocsparseL22bsrxmvn_general_kernelILj64ELj8E21rocsparse_complex_numIdEiiS1_IfES2_S2_EEv20rocsparse_direction_NS_24const_host_device_scalarIT1_EET3_PKS8_PKT2_SD_SA_PKT4_S8_PKT5_S7_PT6_21rocsparse_index_base_b
		.amdhsa_group_segment_fixed_size 0
		.amdhsa_private_segment_fixed_size 0
		.amdhsa_kernarg_size 120
		.amdhsa_user_sgpr_count 2
		.amdhsa_user_sgpr_dispatch_ptr 0
		.amdhsa_user_sgpr_queue_ptr 0
		.amdhsa_user_sgpr_kernarg_segment_ptr 1
		.amdhsa_user_sgpr_dispatch_id 0
		.amdhsa_user_sgpr_private_segment_size 0
		.amdhsa_wavefront_size32 1
		.amdhsa_uses_dynamic_stack 0
		.amdhsa_enable_private_segment 0
		.amdhsa_system_sgpr_workgroup_id_x 1
		.amdhsa_system_sgpr_workgroup_id_y 0
		.amdhsa_system_sgpr_workgroup_id_z 0
		.amdhsa_system_sgpr_workgroup_info 0
		.amdhsa_system_vgpr_workitem_id 0
		.amdhsa_next_free_vgpr 36
		.amdhsa_next_free_sgpr 30
		.amdhsa_reserve_vcc 1
		.amdhsa_float_round_mode_32 0
		.amdhsa_float_round_mode_16_64 0
		.amdhsa_float_denorm_mode_32 3
		.amdhsa_float_denorm_mode_16_64 3
		.amdhsa_fp16_overflow 0
		.amdhsa_workgroup_processor_mode 1
		.amdhsa_memory_ordered 1
		.amdhsa_forward_progress 1
		.amdhsa_inst_pref_size 12
		.amdhsa_round_robin_scheduling 0
		.amdhsa_exception_fp_ieee_invalid_op 0
		.amdhsa_exception_fp_denorm_src 0
		.amdhsa_exception_fp_ieee_div_zero 0
		.amdhsa_exception_fp_ieee_overflow 0
		.amdhsa_exception_fp_ieee_underflow 0
		.amdhsa_exception_fp_ieee_inexact 0
		.amdhsa_exception_int_div_zero 0
	.end_amdhsa_kernel
	.section	.text._ZN9rocsparseL22bsrxmvn_general_kernelILj64ELj8E21rocsparse_complex_numIdEiiS1_IfES2_S2_EEv20rocsparse_direction_NS_24const_host_device_scalarIT1_EET3_PKS8_PKT2_SD_SA_PKT4_S8_PKT5_S7_PT6_21rocsparse_index_base_b,"axG",@progbits,_ZN9rocsparseL22bsrxmvn_general_kernelILj64ELj8E21rocsparse_complex_numIdEiiS1_IfES2_S2_EEv20rocsparse_direction_NS_24const_host_device_scalarIT1_EET3_PKS8_PKT2_SD_SA_PKT4_S8_PKT5_S7_PT6_21rocsparse_index_base_b,comdat
.Lfunc_end99:
	.size	_ZN9rocsparseL22bsrxmvn_general_kernelILj64ELj8E21rocsparse_complex_numIdEiiS1_IfES2_S2_EEv20rocsparse_direction_NS_24const_host_device_scalarIT1_EET3_PKS8_PKT2_SD_SA_PKT4_S8_PKT5_S7_PT6_21rocsparse_index_base_b, .Lfunc_end99-_ZN9rocsparseL22bsrxmvn_general_kernelILj64ELj8E21rocsparse_complex_numIdEiiS1_IfES2_S2_EEv20rocsparse_direction_NS_24const_host_device_scalarIT1_EET3_PKS8_PKT2_SD_SA_PKT4_S8_PKT5_S7_PT6_21rocsparse_index_base_b
                                        ; -- End function
	.set _ZN9rocsparseL22bsrxmvn_general_kernelILj64ELj8E21rocsparse_complex_numIdEiiS1_IfES2_S2_EEv20rocsparse_direction_NS_24const_host_device_scalarIT1_EET3_PKS8_PKT2_SD_SA_PKT4_S8_PKT5_S7_PT6_21rocsparse_index_base_b.num_vgpr, 36
	.set _ZN9rocsparseL22bsrxmvn_general_kernelILj64ELj8E21rocsparse_complex_numIdEiiS1_IfES2_S2_EEv20rocsparse_direction_NS_24const_host_device_scalarIT1_EET3_PKS8_PKT2_SD_SA_PKT4_S8_PKT5_S7_PT6_21rocsparse_index_base_b.num_agpr, 0
	.set _ZN9rocsparseL22bsrxmvn_general_kernelILj64ELj8E21rocsparse_complex_numIdEiiS1_IfES2_S2_EEv20rocsparse_direction_NS_24const_host_device_scalarIT1_EET3_PKS8_PKT2_SD_SA_PKT4_S8_PKT5_S7_PT6_21rocsparse_index_base_b.numbered_sgpr, 30
	.set _ZN9rocsparseL22bsrxmvn_general_kernelILj64ELj8E21rocsparse_complex_numIdEiiS1_IfES2_S2_EEv20rocsparse_direction_NS_24const_host_device_scalarIT1_EET3_PKS8_PKT2_SD_SA_PKT4_S8_PKT5_S7_PT6_21rocsparse_index_base_b.num_named_barrier, 0
	.set _ZN9rocsparseL22bsrxmvn_general_kernelILj64ELj8E21rocsparse_complex_numIdEiiS1_IfES2_S2_EEv20rocsparse_direction_NS_24const_host_device_scalarIT1_EET3_PKS8_PKT2_SD_SA_PKT4_S8_PKT5_S7_PT6_21rocsparse_index_base_b.private_seg_size, 0
	.set _ZN9rocsparseL22bsrxmvn_general_kernelILj64ELj8E21rocsparse_complex_numIdEiiS1_IfES2_S2_EEv20rocsparse_direction_NS_24const_host_device_scalarIT1_EET3_PKS8_PKT2_SD_SA_PKT4_S8_PKT5_S7_PT6_21rocsparse_index_base_b.uses_vcc, 1
	.set _ZN9rocsparseL22bsrxmvn_general_kernelILj64ELj8E21rocsparse_complex_numIdEiiS1_IfES2_S2_EEv20rocsparse_direction_NS_24const_host_device_scalarIT1_EET3_PKS8_PKT2_SD_SA_PKT4_S8_PKT5_S7_PT6_21rocsparse_index_base_b.uses_flat_scratch, 0
	.set _ZN9rocsparseL22bsrxmvn_general_kernelILj64ELj8E21rocsparse_complex_numIdEiiS1_IfES2_S2_EEv20rocsparse_direction_NS_24const_host_device_scalarIT1_EET3_PKS8_PKT2_SD_SA_PKT4_S8_PKT5_S7_PT6_21rocsparse_index_base_b.has_dyn_sized_stack, 0
	.set _ZN9rocsparseL22bsrxmvn_general_kernelILj64ELj8E21rocsparse_complex_numIdEiiS1_IfES2_S2_EEv20rocsparse_direction_NS_24const_host_device_scalarIT1_EET3_PKS8_PKT2_SD_SA_PKT4_S8_PKT5_S7_PT6_21rocsparse_index_base_b.has_recursion, 0
	.set _ZN9rocsparseL22bsrxmvn_general_kernelILj64ELj8E21rocsparse_complex_numIdEiiS1_IfES2_S2_EEv20rocsparse_direction_NS_24const_host_device_scalarIT1_EET3_PKS8_PKT2_SD_SA_PKT4_S8_PKT5_S7_PT6_21rocsparse_index_base_b.has_indirect_call, 0
	.section	.AMDGPU.csdata,"",@progbits
; Kernel info:
; codeLenInByte = 1520
; TotalNumSgprs: 32
; NumVgprs: 36
; ScratchSize: 0
; MemoryBound: 0
; FloatMode: 240
; IeeeMode: 1
; LDSByteSize: 0 bytes/workgroup (compile time only)
; SGPRBlocks: 0
; VGPRBlocks: 4
; NumSGPRsForWavesPerEU: 32
; NumVGPRsForWavesPerEU: 36
; Occupancy: 16
; WaveLimiterHint : 1
; COMPUTE_PGM_RSRC2:SCRATCH_EN: 0
; COMPUTE_PGM_RSRC2:USER_SGPR: 2
; COMPUTE_PGM_RSRC2:TRAP_HANDLER: 0
; COMPUTE_PGM_RSRC2:TGID_X_EN: 1
; COMPUTE_PGM_RSRC2:TGID_Y_EN: 0
; COMPUTE_PGM_RSRC2:TGID_Z_EN: 0
; COMPUTE_PGM_RSRC2:TIDIG_COMP_CNT: 0
	.section	.text._ZN9rocsparseL22bsrxmvn_general_kernelILj256ELj16E21rocsparse_complex_numIdEiiS1_IfES2_S2_EEv20rocsparse_direction_NS_24const_host_device_scalarIT1_EET3_PKS8_PKT2_SD_SA_PKT4_S8_PKT5_S7_PT6_21rocsparse_index_base_b,"axG",@progbits,_ZN9rocsparseL22bsrxmvn_general_kernelILj256ELj16E21rocsparse_complex_numIdEiiS1_IfES2_S2_EEv20rocsparse_direction_NS_24const_host_device_scalarIT1_EET3_PKS8_PKT2_SD_SA_PKT4_S8_PKT5_S7_PT6_21rocsparse_index_base_b,comdat
	.globl	_ZN9rocsparseL22bsrxmvn_general_kernelILj256ELj16E21rocsparse_complex_numIdEiiS1_IfES2_S2_EEv20rocsparse_direction_NS_24const_host_device_scalarIT1_EET3_PKS8_PKT2_SD_SA_PKT4_S8_PKT5_S7_PT6_21rocsparse_index_base_b ; -- Begin function _ZN9rocsparseL22bsrxmvn_general_kernelILj256ELj16E21rocsparse_complex_numIdEiiS1_IfES2_S2_EEv20rocsparse_direction_NS_24const_host_device_scalarIT1_EET3_PKS8_PKT2_SD_SA_PKT4_S8_PKT5_S7_PT6_21rocsparse_index_base_b
	.p2align	8
	.type	_ZN9rocsparseL22bsrxmvn_general_kernelILj256ELj16E21rocsparse_complex_numIdEiiS1_IfES2_S2_EEv20rocsparse_direction_NS_24const_host_device_scalarIT1_EET3_PKS8_PKT2_SD_SA_PKT4_S8_PKT5_S7_PT6_21rocsparse_index_base_b,@function
_ZN9rocsparseL22bsrxmvn_general_kernelILj256ELj16E21rocsparse_complex_numIdEiiS1_IfES2_S2_EEv20rocsparse_direction_NS_24const_host_device_scalarIT1_EET3_PKS8_PKT2_SD_SA_PKT4_S8_PKT5_S7_PT6_21rocsparse_index_base_b: ; @_ZN9rocsparseL22bsrxmvn_general_kernelILj256ELj16E21rocsparse_complex_numIdEiiS1_IfES2_S2_EEv20rocsparse_direction_NS_24const_host_device_scalarIT1_EET3_PKS8_PKT2_SD_SA_PKT4_S8_PKT5_S7_PT6_21rocsparse_index_base_b
; %bb.0:
	s_clause 0x1
	s_load_b64 s[12:13], s[0:1], 0x70
	s_load_b64 s[2:3], s[0:1], 0x8
	s_add_nc_u64 s[4:5], s[0:1], 8
	s_load_b64 s[6:7], s[0:1], 0x58
	s_wait_kmcnt 0x0
	s_bitcmp1_b32 s13, 0
	s_cselect_b32 s2, s4, s2
	s_cselect_b32 s3, s5, s3
	s_delay_alu instid0(SALU_CYCLE_1)
	v_dual_mov_b32 v1, s2 :: v_dual_mov_b32 v2, s3
	s_add_nc_u64 s[2:3], s[0:1], 0x58
	s_wait_alu 0xfffe
	s_cselect_b32 s2, s2, s6
	s_cselect_b32 s3, s3, s7
	flat_load_b128 v[1:4], v[1:2]
	s_wait_alu 0xfffe
	v_dual_mov_b32 v5, s2 :: v_dual_mov_b32 v6, s3
	flat_load_b128 v[5:8], v[5:6]
	s_wait_loadcnt_dscnt 0x101
	v_cmp_eq_f64_e32 vcc_lo, 0, v[1:2]
	v_cmp_eq_f64_e64 s2, 0, v[3:4]
	s_and_b32 s4, vcc_lo, s2
	s_mov_b32 s2, -1
	s_and_saveexec_b32 s3, s4
	s_cbranch_execz .LBB100_2
; %bb.1:
	s_wait_loadcnt_dscnt 0x0
	v_cmp_neq_f64_e32 vcc_lo, 1.0, v[5:6]
	v_cmp_neq_f64_e64 s2, 0, v[7:8]
	s_wait_alu 0xfffe
	s_or_b32 s2, vcc_lo, s2
	s_wait_alu 0xfffe
	s_or_not1_b32 s2, s2, exec_lo
.LBB100_2:
	s_wait_alu 0xfffe
	s_or_b32 exec_lo, exec_lo, s3
	s_and_saveexec_b32 s3, s2
	s_cbranch_execz .LBB100_25
; %bb.3:
	s_load_b64 s[2:3], s[0:1], 0x20
	s_wait_kmcnt 0x0
	s_cmp_eq_u64 s[2:3], 0
	s_cbranch_scc1 .LBB100_5
; %bb.4:
	s_mov_b32 s4, ttmp9
	s_ashr_i32 s5, ttmp9, 31
	s_delay_alu instid0(SALU_CYCLE_1) | instskip(NEXT) | instid1(SALU_CYCLE_1)
	s_lshl_b64 s[4:5], s[4:5], 2
	s_add_nc_u64 s[2:3], s[2:3], s[4:5]
	s_load_b32 s2, s[2:3], 0x0
	s_wait_kmcnt 0x0
	s_sub_co_i32 s18, s2, s12
	s_branch .LBB100_6
.LBB100_5:
	s_mov_b32 s18, ttmp9
.LBB100_6:
	s_load_b32 s14, s[0:1], 0x48
	v_lshrrev_b32_e32 v13, 4, v0
	s_wait_kmcnt 0x0
	s_delay_alu instid0(VALU_DEP_1)
	v_cmp_gt_i32_e32 vcc_lo, s14, v13
	s_and_b32 exec_lo, exec_lo, vcc_lo
	s_cbranch_execz .LBB100_25
; %bb.7:
	s_load_b256 s[4:11], s[0:1], 0x28
	s_ashr_i32 s19, s18, 31
	v_mbcnt_lo_u32_b32 v9, -1, 0
	s_lshl_b64 s[20:21], s[18:19], 2
	s_wait_loadcnt_dscnt 0x0
	v_cmp_eq_f64_e32 vcc_lo, 0, v[5:6]
	v_cmp_eq_f64_e64 s2, 0, v[7:8]
	s_mul_i32 s13, s18, s14
	v_xor_b32_e32 v10, 8, v9
	s_load_b32 s24, s[0:1], 0x0
	v_xor_b32_e32 v11, 4, v9
	v_xor_b32_e32 v12, 2, v9
	;; [unrolled: 1-line block ×3, first 2 shown]
	v_cmp_gt_i32_e64 s3, 32, v10
	v_dual_mov_b32 v14, 0 :: v_dual_and_b32 v15, 15, v0
	v_mul_lo_u32 v0, s14, v13
	s_mov_b32 s15, 0
	s_wait_alu 0xf1ff
	v_cndmask_b32_e64 v10, v9, v10, s3
	v_cmp_gt_i32_e64 s3, 32, v11
	v_mul_lo_u32 v23, s14, v15
	s_wait_kmcnt 0x0
	s_add_nc_u64 s[22:23], s[4:5], s[20:21]
	s_load_b32 s19, s[22:23], 0x0
	s_clause 0x1
	s_load_b64 s[4:5], s[0:1], 0x68
	s_load_b64 s[16:17], s[0:1], 0x50
	s_add_nc_u64 s[0:1], s[6:7], s[20:21]
	s_add_nc_u64 s[20:21], s[22:23], 4
	v_cndmask_b32_e64 v11, v9, v11, s3
	v_cmp_gt_i32_e64 s3, 32, v12
	v_mov_b32_e32 v16, v14
	v_lshlrev_b32_e32 v24, 2, v10
	s_delay_alu instid0(VALU_DEP_4) | instskip(SKIP_3) | instid1(VALU_DEP_2)
	v_lshlrev_b32_e32 v25, 2, v11
	s_wait_alu 0xf1ff
	v_cndmask_b32_e64 v12, v9, v12, s3
	v_cmp_gt_i32_e64 s3, 32, v17
	v_lshlrev_b32_e32 v26, 2, v12
	s_wait_alu 0xf1ff
	s_delay_alu instid0(VALU_DEP_2) | instskip(SKIP_3) | instid1(VALU_DEP_1)
	v_cndmask_b32_e64 v9, v9, v17, s3
	s_wait_kmcnt 0x0
	s_sub_co_i32 s18, s19, s12
	s_cmp_eq_u64 s[6:7], 0
	v_lshlrev_b32_e32 v27, 2, v9
	s_cselect_b32 s1, s21, s1
	s_cselect_b32 s0, s20, s0
	s_mul_u64 s[6:7], s[14:15], s[14:15]
	s_load_b32 s20, s[0:1], 0x0
	v_cmp_gt_u32_e64 s0, s14, v15
	v_cmp_eq_u32_e64 s1, 15, v15
	s_wait_kmcnt 0x0
	s_sub_co_i32 s22, s20, s12
	s_cmp_lt_i32 s19, s20
	s_cselect_b32 s23, -1, 0
	s_cmp_lg_u32 s24, 0
	s_cselect_b32 s24, -1, 0
	s_ashr_i32 s19, s18, 31
	s_and_b32 s25, vcc_lo, s2
	s_mul_u64 s[2:3], s[18:19], s[6:7]
	s_lshl_b32 s19, s14, 4
	s_branch .LBB100_9
.LBB100_8:                              ;   in Loop: Header=BB100_9 Depth=1
	s_wait_alu 0xfffe
	s_or_b32 exec_lo, exec_lo, s20
	v_add_nc_u32_e32 v13, 16, v13
	v_add_nc_u32_e32 v0, s19, v0
	s_delay_alu instid0(VALU_DEP_2)
	v_cmp_le_i32_e32 vcc_lo, s14, v13
	s_or_b32 s15, vcc_lo, s15
	s_wait_alu 0xfffe
	s_and_not1_b32 exec_lo, exec_lo, s15
	s_cbranch_execz .LBB100_25
.LBB100_9:                              ; =>This Loop Header: Depth=1
                                        ;     Child Loop BB100_13 Depth 2
                                        ;       Child Loop BB100_16 Depth 3
	v_mov_b32_e32 v9, 0
	v_dual_mov_b32 v10, 0 :: v_dual_mov_b32 v11, 0
	v_mov_b32_e32 v12, 0
	s_and_not1_b32 vcc_lo, exec_lo, s23
	s_wait_alu 0xfffe
	s_cbranch_vccnz .LBB100_20
; %bb.10:                               ;   in Loop: Header=BB100_9 Depth=1
	s_wait_dscnt 0x3
	v_ashrrev_i32_e32 v17, 31, v0
	v_mov_b32_e32 v9, 0
	v_add_co_u32 v28, vcc_lo, s2, v0
	v_dual_mov_b32 v10, 0 :: v_dual_mov_b32 v11, 0
	v_mov_b32_e32 v12, 0
	s_wait_alu 0xfffd
	v_add_co_ci_u32_e64 v29, null, s3, v17, vcc_lo
	s_mov_b32 s20, s18
	s_branch .LBB100_13
.LBB100_11:                             ;   in Loop: Header=BB100_13 Depth=2
	s_or_b32 exec_lo, exec_lo, s21
.LBB100_12:                             ;   in Loop: Header=BB100_13 Depth=2
	s_wait_alu 0xfffe
	s_or_b32 exec_lo, exec_lo, s26
	v_add_co_u32 v28, vcc_lo, v28, s6
	s_wait_alu 0xfffd
	v_add_co_ci_u32_e64 v29, null, s7, v29, vcc_lo
	s_add_co_i32 s20, s20, 1
	s_wait_alu 0xfffe
	s_cmp_ge_i32 s20, s22
	s_cbranch_scc1 .LBB100_20
.LBB100_13:                             ;   Parent Loop BB100_9 Depth=1
                                        ; =>  This Loop Header: Depth=2
                                        ;       Child Loop BB100_16 Depth 3
	s_and_saveexec_b32 s26, s0
	s_cbranch_execz .LBB100_12
; %bb.14:                               ;   in Loop: Header=BB100_13 Depth=2
	s_wait_alu 0xfffe
	s_ashr_i32 s21, s20, 31
	s_wait_dscnt 0x2
	v_mad_co_u64_u32 v[17:18], null, s6, s20, v[13:14]
	s_wait_alu 0xfffe
	s_lshl_b64 s[28:29], s[20:21], 2
	s_mul_i32 s21, s6, s21
	s_wait_alu 0xfffe
	s_add_nc_u64 s[28:29], s[8:9], s[28:29]
	s_wait_dscnt 0x0
	v_mov_b32_e32 v20, v16
	s_load_b32 s27, s[28:29], 0x0
	s_mul_i32 s28, s7, s20
	v_dual_mov_b32 v30, v23 :: v_dual_mov_b32 v19, v15
	s_wait_alu 0xfffe
	v_add3_u32 v18, s21, s28, v18
	s_wait_kmcnt 0x0
	s_sub_co_i32 s21, s27, s12
	s_wait_alu 0xfffe
	s_mul_i32 s27, s21, s14
	s_mov_b32 s21, 0
	s_branch .LBB100_16
.LBB100_15:                             ;   in Loop: Header=BB100_16 Depth=3
	s_delay_alu instid0(VALU_DEP_1) | instskip(SKIP_2) | instid1(VALU_DEP_2)
	v_lshlrev_b64_e32 v[21:22], 3, v[21:22]
	v_add_nc_u32_e32 v31, s27, v19
	v_add_nc_u32_e32 v30, s19, v30
	v_ashrrev_i32_e32 v32, 31, v31
	s_delay_alu instid0(VALU_DEP_4) | instskip(SKIP_2) | instid1(VALU_DEP_3)
	v_add_co_u32 v21, vcc_lo, s10, v21
	s_wait_alu 0xfffd
	v_add_co_ci_u32_e64 v22, null, s11, v22, vcc_lo
	v_lshlrev_b64_e32 v[31:32], 4, v[31:32]
	global_load_b64 v[21:22], v[21:22], off
	v_add_co_u32 v31, vcc_lo, s16, v31
	s_wait_alu 0xfffd
	v_add_co_ci_u32_e64 v32, null, s17, v32, vcc_lo
	v_add_co_u32 v19, vcc_lo, v19, 16
	s_wait_alu 0xfffd
	v_add_co_ci_u32_e64 v20, null, 0, v20, vcc_lo
	global_load_b128 v[31:34], v[31:32], off
	v_cmp_le_i32_e32 vcc_lo, s14, v19
	s_or_b32 s21, vcc_lo, s21
	s_wait_loadcnt 0x1
	v_cvt_f64_f32_e32 v[35:36], v21
	v_cvt_f64_f32_e32 v[21:22], v22
	s_wait_loadcnt 0x0
	s_delay_alu instid0(VALU_DEP_2) | instskip(NEXT) | instid1(VALU_DEP_2)
	v_fma_f64 v[11:12], v[35:36], v[31:32], v[11:12]
	v_fma_f64 v[9:10], v[21:22], v[31:32], v[9:10]
	s_delay_alu instid0(VALU_DEP_2) | instskip(NEXT) | instid1(VALU_DEP_2)
	v_fma_f64 v[11:12], -v[21:22], v[33:34], v[11:12]
	v_fma_f64 v[9:10], v[35:36], v[33:34], v[9:10]
	s_wait_alu 0xfffe
	s_and_not1_b32 exec_lo, exec_lo, s21
	s_cbranch_execz .LBB100_11
.LBB100_16:                             ;   Parent Loop BB100_9 Depth=1
                                        ;     Parent Loop BB100_13 Depth=2
                                        ; =>    This Inner Loop Header: Depth=3
	s_and_b32 vcc_lo, exec_lo, s24
	s_wait_alu 0xfffe
	s_cbranch_vccz .LBB100_18
; %bb.17:                               ;   in Loop: Header=BB100_16 Depth=3
	v_ashrrev_i32_e32 v22, 31, v30
	v_add_co_u32 v21, vcc_lo, v17, v30
	s_wait_alu 0xfffd
	s_delay_alu instid0(VALU_DEP_2)
	v_add_co_ci_u32_e64 v22, null, v18, v22, vcc_lo
	s_cbranch_execnz .LBB100_15
	s_branch .LBB100_19
.LBB100_18:                             ;   in Loop: Header=BB100_16 Depth=3
                                        ; implicit-def: $vgpr21_vgpr22
.LBB100_19:                             ;   in Loop: Header=BB100_16 Depth=3
	v_add_co_u32 v21, vcc_lo, v28, v19
	s_wait_alu 0xfffd
	v_add_co_ci_u32_e64 v22, null, v29, v20, vcc_lo
	s_branch .LBB100_15
.LBB100_20:                             ;   in Loop: Header=BB100_9 Depth=1
	s_wait_dscnt 0x3
	ds_bpermute_b32 v17, v24, v11
	s_wait_dscnt 0x3
	ds_bpermute_b32 v18, v24, v12
	;; [unrolled: 2-line block ×4, first 2 shown]
	s_wait_dscnt 0x2
	v_add_f64_e32 v[11:12], v[11:12], v[17:18]
	s_wait_dscnt 0x0
	v_add_f64_e32 v[9:10], v[9:10], v[19:20]
	ds_bpermute_b32 v17, v25, v11
	ds_bpermute_b32 v18, v25, v12
	ds_bpermute_b32 v19, v25, v9
	ds_bpermute_b32 v20, v25, v10
	s_wait_dscnt 0x2
	v_add_f64_e32 v[11:12], v[11:12], v[17:18]
	s_wait_dscnt 0x0
	v_add_f64_e32 v[17:18], v[9:10], v[19:20]
	ds_bpermute_b32 v9, v26, v11
	ds_bpermute_b32 v10, v26, v12
	ds_bpermute_b32 v19, v26, v17
	ds_bpermute_b32 v20, v26, v18
	s_wait_dscnt 0x2
	v_add_f64_e32 v[9:10], v[11:12], v[9:10]
	s_wait_dscnt 0x0
	v_add_f64_e32 v[11:12], v[17:18], v[19:20]
	ds_bpermute_b32 v17, v27, v9
	ds_bpermute_b32 v18, v27, v10
	ds_bpermute_b32 v19, v27, v11
	ds_bpermute_b32 v20, v27, v12
	s_and_saveexec_b32 s20, s1
	s_cbranch_execz .LBB100_8
; %bb.21:                               ;   in Loop: Header=BB100_9 Depth=1
	s_wait_dscnt 0x0
	v_add_f64_e32 v[11:12], v[11:12], v[19:20]
	v_add_f64_e32 v[17:18], v[9:10], v[17:18]
	s_delay_alu instid0(VALU_DEP_2) | instskip(SKIP_1) | instid1(VALU_DEP_2)
	v_mul_f64_e64 v[9:10], v[11:12], -v[3:4]
	v_mul_f64_e32 v[11:12], v[1:2], v[11:12]
	v_fma_f64 v[9:10], v[1:2], v[17:18], v[9:10]
	s_delay_alu instid0(VALU_DEP_2) | instskip(SKIP_1) | instid1(VALU_DEP_1)
	v_fma_f64 v[11:12], v[3:4], v[17:18], v[11:12]
	v_add_nc_u32_e32 v17, s13, v13
	v_ashrrev_i32_e32 v18, 31, v17
	s_and_saveexec_b32 s21, s25
	s_wait_alu 0xfffe
	s_xor_b32 s21, exec_lo, s21
	s_cbranch_execz .LBB100_23
; %bb.22:                               ;   in Loop: Header=BB100_9 Depth=1
	v_lshlrev_b64_e32 v[17:18], 4, v[17:18]
	s_delay_alu instid0(VALU_DEP_1) | instskip(SKIP_1) | instid1(VALU_DEP_2)
	v_add_co_u32 v17, vcc_lo, s4, v17
	s_wait_alu 0xfffd
	v_add_co_ci_u32_e64 v18, null, s5, v18, vcc_lo
	global_store_b128 v[17:18], v[9:12], off
                                        ; implicit-def: $vgpr17
                                        ; implicit-def: $vgpr9_vgpr10
.LBB100_23:                             ;   in Loop: Header=BB100_9 Depth=1
	s_wait_alu 0xfffe
	s_and_not1_saveexec_b32 s21, s21
	s_cbranch_execz .LBB100_8
; %bb.24:                               ;   in Loop: Header=BB100_9 Depth=1
	v_lshlrev_b64_e32 v[17:18], 4, v[17:18]
	s_delay_alu instid0(VALU_DEP_1) | instskip(SKIP_1) | instid1(VALU_DEP_2)
	v_add_co_u32 v21, vcc_lo, s4, v17
	s_wait_alu 0xfffd
	v_add_co_ci_u32_e64 v22, null, s5, v18, vcc_lo
	global_load_b128 v[17:20], v[21:22], off
	s_wait_loadcnt 0x0
	v_fma_f64 v[9:10], v[5:6], v[17:18], v[9:10]
	v_fma_f64 v[11:12], v[7:8], v[17:18], v[11:12]
	s_delay_alu instid0(VALU_DEP_2) | instskip(NEXT) | instid1(VALU_DEP_2)
	v_fma_f64 v[9:10], -v[7:8], v[19:20], v[9:10]
	v_fma_f64 v[11:12], v[5:6], v[19:20], v[11:12]
	global_store_b128 v[21:22], v[9:12], off
	s_branch .LBB100_8
.LBB100_25:
	s_endpgm
	.section	.rodata,"a",@progbits
	.p2align	6, 0x0
	.amdhsa_kernel _ZN9rocsparseL22bsrxmvn_general_kernelILj256ELj16E21rocsparse_complex_numIdEiiS1_IfES2_S2_EEv20rocsparse_direction_NS_24const_host_device_scalarIT1_EET3_PKS8_PKT2_SD_SA_PKT4_S8_PKT5_S7_PT6_21rocsparse_index_base_b
		.amdhsa_group_segment_fixed_size 0
		.amdhsa_private_segment_fixed_size 0
		.amdhsa_kernarg_size 120
		.amdhsa_user_sgpr_count 2
		.amdhsa_user_sgpr_dispatch_ptr 0
		.amdhsa_user_sgpr_queue_ptr 0
		.amdhsa_user_sgpr_kernarg_segment_ptr 1
		.amdhsa_user_sgpr_dispatch_id 0
		.amdhsa_user_sgpr_private_segment_size 0
		.amdhsa_wavefront_size32 1
		.amdhsa_uses_dynamic_stack 0
		.amdhsa_enable_private_segment 0
		.amdhsa_system_sgpr_workgroup_id_x 1
		.amdhsa_system_sgpr_workgroup_id_y 0
		.amdhsa_system_sgpr_workgroup_id_z 0
		.amdhsa_system_sgpr_workgroup_info 0
		.amdhsa_system_vgpr_workitem_id 0
		.amdhsa_next_free_vgpr 37
		.amdhsa_next_free_sgpr 30
		.amdhsa_reserve_vcc 1
		.amdhsa_float_round_mode_32 0
		.amdhsa_float_round_mode_16_64 0
		.amdhsa_float_denorm_mode_32 3
		.amdhsa_float_denorm_mode_16_64 3
		.amdhsa_fp16_overflow 0
		.amdhsa_workgroup_processor_mode 1
		.amdhsa_memory_ordered 1
		.amdhsa_forward_progress 1
		.amdhsa_inst_pref_size 13
		.amdhsa_round_robin_scheduling 0
		.amdhsa_exception_fp_ieee_invalid_op 0
		.amdhsa_exception_fp_denorm_src 0
		.amdhsa_exception_fp_ieee_div_zero 0
		.amdhsa_exception_fp_ieee_overflow 0
		.amdhsa_exception_fp_ieee_underflow 0
		.amdhsa_exception_fp_ieee_inexact 0
		.amdhsa_exception_int_div_zero 0
	.end_amdhsa_kernel
	.section	.text._ZN9rocsparseL22bsrxmvn_general_kernelILj256ELj16E21rocsparse_complex_numIdEiiS1_IfES2_S2_EEv20rocsparse_direction_NS_24const_host_device_scalarIT1_EET3_PKS8_PKT2_SD_SA_PKT4_S8_PKT5_S7_PT6_21rocsparse_index_base_b,"axG",@progbits,_ZN9rocsparseL22bsrxmvn_general_kernelILj256ELj16E21rocsparse_complex_numIdEiiS1_IfES2_S2_EEv20rocsparse_direction_NS_24const_host_device_scalarIT1_EET3_PKS8_PKT2_SD_SA_PKT4_S8_PKT5_S7_PT6_21rocsparse_index_base_b,comdat
.Lfunc_end100:
	.size	_ZN9rocsparseL22bsrxmvn_general_kernelILj256ELj16E21rocsparse_complex_numIdEiiS1_IfES2_S2_EEv20rocsparse_direction_NS_24const_host_device_scalarIT1_EET3_PKS8_PKT2_SD_SA_PKT4_S8_PKT5_S7_PT6_21rocsparse_index_base_b, .Lfunc_end100-_ZN9rocsparseL22bsrxmvn_general_kernelILj256ELj16E21rocsparse_complex_numIdEiiS1_IfES2_S2_EEv20rocsparse_direction_NS_24const_host_device_scalarIT1_EET3_PKS8_PKT2_SD_SA_PKT4_S8_PKT5_S7_PT6_21rocsparse_index_base_b
                                        ; -- End function
	.set _ZN9rocsparseL22bsrxmvn_general_kernelILj256ELj16E21rocsparse_complex_numIdEiiS1_IfES2_S2_EEv20rocsparse_direction_NS_24const_host_device_scalarIT1_EET3_PKS8_PKT2_SD_SA_PKT4_S8_PKT5_S7_PT6_21rocsparse_index_base_b.num_vgpr, 37
	.set _ZN9rocsparseL22bsrxmvn_general_kernelILj256ELj16E21rocsparse_complex_numIdEiiS1_IfES2_S2_EEv20rocsparse_direction_NS_24const_host_device_scalarIT1_EET3_PKS8_PKT2_SD_SA_PKT4_S8_PKT5_S7_PT6_21rocsparse_index_base_b.num_agpr, 0
	.set _ZN9rocsparseL22bsrxmvn_general_kernelILj256ELj16E21rocsparse_complex_numIdEiiS1_IfES2_S2_EEv20rocsparse_direction_NS_24const_host_device_scalarIT1_EET3_PKS8_PKT2_SD_SA_PKT4_S8_PKT5_S7_PT6_21rocsparse_index_base_b.numbered_sgpr, 30
	.set _ZN9rocsparseL22bsrxmvn_general_kernelILj256ELj16E21rocsparse_complex_numIdEiiS1_IfES2_S2_EEv20rocsparse_direction_NS_24const_host_device_scalarIT1_EET3_PKS8_PKT2_SD_SA_PKT4_S8_PKT5_S7_PT6_21rocsparse_index_base_b.num_named_barrier, 0
	.set _ZN9rocsparseL22bsrxmvn_general_kernelILj256ELj16E21rocsparse_complex_numIdEiiS1_IfES2_S2_EEv20rocsparse_direction_NS_24const_host_device_scalarIT1_EET3_PKS8_PKT2_SD_SA_PKT4_S8_PKT5_S7_PT6_21rocsparse_index_base_b.private_seg_size, 0
	.set _ZN9rocsparseL22bsrxmvn_general_kernelILj256ELj16E21rocsparse_complex_numIdEiiS1_IfES2_S2_EEv20rocsparse_direction_NS_24const_host_device_scalarIT1_EET3_PKS8_PKT2_SD_SA_PKT4_S8_PKT5_S7_PT6_21rocsparse_index_base_b.uses_vcc, 1
	.set _ZN9rocsparseL22bsrxmvn_general_kernelILj256ELj16E21rocsparse_complex_numIdEiiS1_IfES2_S2_EEv20rocsparse_direction_NS_24const_host_device_scalarIT1_EET3_PKS8_PKT2_SD_SA_PKT4_S8_PKT5_S7_PT6_21rocsparse_index_base_b.uses_flat_scratch, 0
	.set _ZN9rocsparseL22bsrxmvn_general_kernelILj256ELj16E21rocsparse_complex_numIdEiiS1_IfES2_S2_EEv20rocsparse_direction_NS_24const_host_device_scalarIT1_EET3_PKS8_PKT2_SD_SA_PKT4_S8_PKT5_S7_PT6_21rocsparse_index_base_b.has_dyn_sized_stack, 0
	.set _ZN9rocsparseL22bsrxmvn_general_kernelILj256ELj16E21rocsparse_complex_numIdEiiS1_IfES2_S2_EEv20rocsparse_direction_NS_24const_host_device_scalarIT1_EET3_PKS8_PKT2_SD_SA_PKT4_S8_PKT5_S7_PT6_21rocsparse_index_base_b.has_recursion, 0
	.set _ZN9rocsparseL22bsrxmvn_general_kernelILj256ELj16E21rocsparse_complex_numIdEiiS1_IfES2_S2_EEv20rocsparse_direction_NS_24const_host_device_scalarIT1_EET3_PKS8_PKT2_SD_SA_PKT4_S8_PKT5_S7_PT6_21rocsparse_index_base_b.has_indirect_call, 0
	.section	.AMDGPU.csdata,"",@progbits
; Kernel info:
; codeLenInByte = 1592
; TotalNumSgprs: 32
; NumVgprs: 37
; ScratchSize: 0
; MemoryBound: 0
; FloatMode: 240
; IeeeMode: 1
; LDSByteSize: 0 bytes/workgroup (compile time only)
; SGPRBlocks: 0
; VGPRBlocks: 4
; NumSGPRsForWavesPerEU: 32
; NumVGPRsForWavesPerEU: 37
; Occupancy: 16
; WaveLimiterHint : 1
; COMPUTE_PGM_RSRC2:SCRATCH_EN: 0
; COMPUTE_PGM_RSRC2:USER_SGPR: 2
; COMPUTE_PGM_RSRC2:TRAP_HANDLER: 0
; COMPUTE_PGM_RSRC2:TGID_X_EN: 1
; COMPUTE_PGM_RSRC2:TGID_Y_EN: 0
; COMPUTE_PGM_RSRC2:TGID_Z_EN: 0
; COMPUTE_PGM_RSRC2:TIDIG_COMP_CNT: 0
	.section	.text._ZN9rocsparseL22bsrxmvn_general_kernelILj1024ELj32E21rocsparse_complex_numIdEiiS1_IfES2_S2_EEv20rocsparse_direction_NS_24const_host_device_scalarIT1_EET3_PKS8_PKT2_SD_SA_PKT4_S8_PKT5_S7_PT6_21rocsparse_index_base_b,"axG",@progbits,_ZN9rocsparseL22bsrxmvn_general_kernelILj1024ELj32E21rocsparse_complex_numIdEiiS1_IfES2_S2_EEv20rocsparse_direction_NS_24const_host_device_scalarIT1_EET3_PKS8_PKT2_SD_SA_PKT4_S8_PKT5_S7_PT6_21rocsparse_index_base_b,comdat
	.globl	_ZN9rocsparseL22bsrxmvn_general_kernelILj1024ELj32E21rocsparse_complex_numIdEiiS1_IfES2_S2_EEv20rocsparse_direction_NS_24const_host_device_scalarIT1_EET3_PKS8_PKT2_SD_SA_PKT4_S8_PKT5_S7_PT6_21rocsparse_index_base_b ; -- Begin function _ZN9rocsparseL22bsrxmvn_general_kernelILj1024ELj32E21rocsparse_complex_numIdEiiS1_IfES2_S2_EEv20rocsparse_direction_NS_24const_host_device_scalarIT1_EET3_PKS8_PKT2_SD_SA_PKT4_S8_PKT5_S7_PT6_21rocsparse_index_base_b
	.p2align	8
	.type	_ZN9rocsparseL22bsrxmvn_general_kernelILj1024ELj32E21rocsparse_complex_numIdEiiS1_IfES2_S2_EEv20rocsparse_direction_NS_24const_host_device_scalarIT1_EET3_PKS8_PKT2_SD_SA_PKT4_S8_PKT5_S7_PT6_21rocsparse_index_base_b,@function
_ZN9rocsparseL22bsrxmvn_general_kernelILj1024ELj32E21rocsparse_complex_numIdEiiS1_IfES2_S2_EEv20rocsparse_direction_NS_24const_host_device_scalarIT1_EET3_PKS8_PKT2_SD_SA_PKT4_S8_PKT5_S7_PT6_21rocsparse_index_base_b: ; @_ZN9rocsparseL22bsrxmvn_general_kernelILj1024ELj32E21rocsparse_complex_numIdEiiS1_IfES2_S2_EEv20rocsparse_direction_NS_24const_host_device_scalarIT1_EET3_PKS8_PKT2_SD_SA_PKT4_S8_PKT5_S7_PT6_21rocsparse_index_base_b
; %bb.0:
	s_clause 0x1
	s_load_b64 s[12:13], s[0:1], 0x70
	s_load_b64 s[2:3], s[0:1], 0x8
	s_add_nc_u64 s[4:5], s[0:1], 8
	s_load_b64 s[6:7], s[0:1], 0x58
	s_wait_kmcnt 0x0
	s_bitcmp1_b32 s13, 0
	s_cselect_b32 s2, s4, s2
	s_cselect_b32 s3, s5, s3
	s_delay_alu instid0(SALU_CYCLE_1)
	v_dual_mov_b32 v1, s2 :: v_dual_mov_b32 v2, s3
	s_add_nc_u64 s[2:3], s[0:1], 0x58
	s_wait_alu 0xfffe
	s_cselect_b32 s2, s2, s6
	s_cselect_b32 s3, s3, s7
	flat_load_b128 v[1:4], v[1:2]
	s_wait_alu 0xfffe
	v_dual_mov_b32 v5, s2 :: v_dual_mov_b32 v6, s3
	flat_load_b128 v[5:8], v[5:6]
	s_wait_loadcnt_dscnt 0x101
	v_cmp_eq_f64_e32 vcc_lo, 0, v[1:2]
	v_cmp_eq_f64_e64 s2, 0, v[3:4]
	s_and_b32 s4, vcc_lo, s2
	s_mov_b32 s2, -1
	s_and_saveexec_b32 s3, s4
	s_cbranch_execz .LBB101_2
; %bb.1:
	s_wait_loadcnt_dscnt 0x0
	v_cmp_neq_f64_e32 vcc_lo, 1.0, v[5:6]
	v_cmp_neq_f64_e64 s2, 0, v[7:8]
	s_wait_alu 0xfffe
	s_or_b32 s2, vcc_lo, s2
	s_wait_alu 0xfffe
	s_or_not1_b32 s2, s2, exec_lo
.LBB101_2:
	s_wait_alu 0xfffe
	s_or_b32 exec_lo, exec_lo, s3
	s_and_saveexec_b32 s3, s2
	s_cbranch_execz .LBB101_25
; %bb.3:
	s_load_b64 s[2:3], s[0:1], 0x20
	s_wait_kmcnt 0x0
	s_cmp_eq_u64 s[2:3], 0
	s_cbranch_scc1 .LBB101_5
; %bb.4:
	s_mov_b32 s4, ttmp9
	s_ashr_i32 s5, ttmp9, 31
	s_delay_alu instid0(SALU_CYCLE_1) | instskip(NEXT) | instid1(SALU_CYCLE_1)
	s_lshl_b64 s[4:5], s[4:5], 2
	s_add_nc_u64 s[2:3], s[2:3], s[4:5]
	s_load_b32 s2, s[2:3], 0x0
	s_wait_kmcnt 0x0
	s_sub_co_i32 s18, s2, s12
	s_branch .LBB101_6
.LBB101_5:
	s_mov_b32 s18, ttmp9
.LBB101_6:
	s_load_b32 s14, s[0:1], 0x48
	v_lshrrev_b32_e32 v13, 5, v0
	s_wait_kmcnt 0x0
	s_delay_alu instid0(VALU_DEP_1)
	v_cmp_gt_i32_e32 vcc_lo, s14, v13
	s_and_b32 exec_lo, exec_lo, vcc_lo
	s_cbranch_execz .LBB101_25
; %bb.7:
	s_load_b256 s[4:11], s[0:1], 0x28
	s_ashr_i32 s19, s18, 31
	v_mbcnt_lo_u32_b32 v9, -1, 0
	s_lshl_b64 s[20:21], s[18:19], 2
	s_wait_loadcnt_dscnt 0x0
	v_cmp_eq_f64_e32 vcc_lo, 0, v[5:6]
	v_cmp_eq_f64_e64 s2, 0, v[7:8]
	s_load_b32 s27, s[0:1], 0x0
	v_xor_b32_e32 v10, 16, v9
	v_xor_b32_e32 v11, 8, v9
	;; [unrolled: 1-line block ×5, first 2 shown]
	v_cmp_gt_i32_e64 s3, 32, v10
	v_dual_mov_b32 v14, 0 :: v_dual_and_b32 v15, 31, v0
	v_mul_lo_u32 v0, s14, v13
	s_mov_b32 s15, 0
	s_wait_alu 0xf1ff
	v_cndmask_b32_e64 v10, v9, v10, s3
	v_cmp_gt_i32_e64 s3, 32, v11
	v_mul_lo_u32 v23, s14, v15
	s_wait_kmcnt 0x0
	s_add_nc_u64 s[22:23], s[4:5], s[20:21]
	s_add_nc_u64 s[24:25], s[6:7], s[20:21]
	s_load_b32 s26, s[22:23], 0x0
	s_clause 0x1
	s_load_b64 s[4:5], s[0:1], 0x68
	s_load_b64 s[16:17], s[0:1], 0x50
	s_add_nc_u64 s[22:23], s[22:23], 4
	v_cndmask_b32_e64 v11, v9, v11, s3
	v_cmp_gt_i32_e64 s3, 32, v12
	v_cmp_gt_u32_e64 s0, s14, v15
	v_cmp_eq_u32_e64 s1, 31, v15
	s_delay_alu instid0(VALU_DEP_4)
	v_dual_mov_b32 v16, v14 :: v_dual_lshlrev_b32 v25, 2, v11
	s_wait_alu 0xf1ff
	v_cndmask_b32_e64 v12, v9, v12, s3
	v_cmp_gt_i32_e64 s3, 32, v17
	v_lshlrev_b32_e32 v24, 2, v10
	s_mul_i32 s13, s18, s14
	s_mul_u64 s[18:19], s[14:15], s[14:15]
	v_lshlrev_b32_e32 v26, 2, v12
	v_cndmask_b32_e64 v17, v9, v17, s3
	v_cmp_gt_i32_e64 s3, 32, v18
	s_wait_kmcnt 0x0
	s_sub_co_i32 s20, s26, s12
	s_cmp_eq_u64 s[6:7], 0
	s_wait_alu 0xf1ff
	v_cndmask_b32_e64 v9, v9, v18, s3
	s_cselect_b32 s7, s23, s25
	s_cselect_b32 s6, s22, s24
	v_lshlrev_b32_e32 v27, 2, v17
	s_load_b32 s6, s[6:7], 0x0
	v_lshlrev_b32_e32 v28, 2, v9
	s_wait_kmcnt 0x0
	s_sub_co_i32 s22, s6, s12
	s_cmp_lt_i32 s26, s6
	s_cselect_b32 s23, -1, 0
	s_cmp_lg_u32 s27, 0
	s_cselect_b32 s24, -1, 0
	s_ashr_i32 s21, s20, 31
	s_and_b32 s25, vcc_lo, s2
	s_mul_u64 s[2:3], s[20:21], s[18:19]
	s_lshl_b32 s21, s14, 5
	s_branch .LBB101_9
.LBB101_8:                              ;   in Loop: Header=BB101_9 Depth=1
	s_wait_alu 0xfffe
	s_or_b32 exec_lo, exec_lo, s6
	v_add_nc_u32_e32 v13, 32, v13
	v_add_nc_u32_e32 v0, s21, v0
	s_delay_alu instid0(VALU_DEP_2)
	v_cmp_le_i32_e32 vcc_lo, s14, v13
	s_or_b32 s15, vcc_lo, s15
	s_wait_alu 0xfffe
	s_and_not1_b32 exec_lo, exec_lo, s15
	s_cbranch_execz .LBB101_25
.LBB101_9:                              ; =>This Loop Header: Depth=1
                                        ;     Child Loop BB101_13 Depth 2
                                        ;       Child Loop BB101_16 Depth 3
	v_mov_b32_e32 v9, 0
	v_dual_mov_b32 v10, 0 :: v_dual_mov_b32 v11, 0
	v_mov_b32_e32 v12, 0
	s_and_not1_b32 vcc_lo, exec_lo, s23
	s_wait_alu 0xfffe
	s_cbranch_vccnz .LBB101_20
; %bb.10:                               ;   in Loop: Header=BB101_9 Depth=1
	s_wait_dscnt 0x3
	v_ashrrev_i32_e32 v17, 31, v0
	v_mov_b32_e32 v9, 0
	v_add_co_u32 v29, vcc_lo, s2, v0
	v_dual_mov_b32 v10, 0 :: v_dual_mov_b32 v11, 0
	v_mov_b32_e32 v12, 0
	s_wait_alu 0xfffd
	v_add_co_ci_u32_e64 v30, null, s3, v17, vcc_lo
	s_mov_b32 s6, s20
	s_branch .LBB101_13
.LBB101_11:                             ;   in Loop: Header=BB101_13 Depth=2
	s_or_b32 exec_lo, exec_lo, s7
.LBB101_12:                             ;   in Loop: Header=BB101_13 Depth=2
	s_wait_alu 0xfffe
	s_or_b32 exec_lo, exec_lo, s26
	v_add_co_u32 v29, vcc_lo, v29, s18
	s_wait_alu 0xfffd
	v_add_co_ci_u32_e64 v30, null, s19, v30, vcc_lo
	s_add_co_i32 s6, s6, 1
	s_wait_alu 0xfffe
	s_cmp_ge_i32 s6, s22
	s_cbranch_scc1 .LBB101_20
.LBB101_13:                             ;   Parent Loop BB101_9 Depth=1
                                        ; =>  This Loop Header: Depth=2
                                        ;       Child Loop BB101_16 Depth 3
	s_and_saveexec_b32 s26, s0
	s_cbranch_execz .LBB101_12
; %bb.14:                               ;   in Loop: Header=BB101_13 Depth=2
	s_wait_alu 0xfffe
	s_ashr_i32 s7, s6, 31
	s_wait_dscnt 0x2
	v_mad_co_u64_u32 v[17:18], null, s18, s6, v[13:14]
	s_wait_alu 0xfffe
	s_lshl_b64 s[28:29], s[6:7], 2
	s_mul_i32 s7, s18, s7
	s_wait_alu 0xfffe
	s_add_nc_u64 s[28:29], s[8:9], s[28:29]
	s_wait_dscnt 0x0
	v_dual_mov_b32 v31, v23 :: v_dual_mov_b32 v20, v16
	s_load_b32 s27, s[28:29], 0x0
	s_mul_i32 s28, s19, s6
	v_mov_b32_e32 v19, v15
	s_wait_alu 0xfffe
	v_add3_u32 v18, s7, s28, v18
	s_wait_kmcnt 0x0
	s_sub_co_i32 s7, s27, s12
	s_wait_alu 0xfffe
	s_mul_i32 s27, s7, s14
	s_mov_b32 s7, 0
	s_branch .LBB101_16
.LBB101_15:                             ;   in Loop: Header=BB101_16 Depth=3
	s_delay_alu instid0(VALU_DEP_1) | instskip(SKIP_2) | instid1(VALU_DEP_2)
	v_lshlrev_b64_e32 v[21:22], 3, v[21:22]
	v_add_nc_u32_e32 v32, s27, v19
	v_add_nc_u32_e32 v31, s21, v31
	v_ashrrev_i32_e32 v33, 31, v32
	s_delay_alu instid0(VALU_DEP_4) | instskip(SKIP_2) | instid1(VALU_DEP_3)
	v_add_co_u32 v21, vcc_lo, s10, v21
	s_wait_alu 0xfffd
	v_add_co_ci_u32_e64 v22, null, s11, v22, vcc_lo
	v_lshlrev_b64_e32 v[32:33], 4, v[32:33]
	global_load_b64 v[21:22], v[21:22], off
	v_add_co_u32 v32, vcc_lo, s16, v32
	s_wait_alu 0xfffd
	v_add_co_ci_u32_e64 v33, null, s17, v33, vcc_lo
	v_add_co_u32 v19, vcc_lo, v19, 32
	s_wait_alu 0xfffd
	v_add_co_ci_u32_e64 v20, null, 0, v20, vcc_lo
	global_load_b128 v[32:35], v[32:33], off
	v_cmp_le_i32_e32 vcc_lo, s14, v19
	s_or_b32 s7, vcc_lo, s7
	s_wait_loadcnt 0x1
	v_cvt_f64_f32_e32 v[36:37], v21
	v_cvt_f64_f32_e32 v[21:22], v22
	s_wait_loadcnt 0x0
	s_delay_alu instid0(VALU_DEP_2) | instskip(NEXT) | instid1(VALU_DEP_2)
	v_fma_f64 v[11:12], v[36:37], v[32:33], v[11:12]
	v_fma_f64 v[9:10], v[21:22], v[32:33], v[9:10]
	s_delay_alu instid0(VALU_DEP_2) | instskip(NEXT) | instid1(VALU_DEP_2)
	v_fma_f64 v[11:12], -v[21:22], v[34:35], v[11:12]
	v_fma_f64 v[9:10], v[36:37], v[34:35], v[9:10]
	s_wait_alu 0xfffe
	s_and_not1_b32 exec_lo, exec_lo, s7
	s_cbranch_execz .LBB101_11
.LBB101_16:                             ;   Parent Loop BB101_9 Depth=1
                                        ;     Parent Loop BB101_13 Depth=2
                                        ; =>    This Inner Loop Header: Depth=3
	s_and_b32 vcc_lo, exec_lo, s24
	s_wait_alu 0xfffe
	s_cbranch_vccz .LBB101_18
; %bb.17:                               ;   in Loop: Header=BB101_16 Depth=3
	v_ashrrev_i32_e32 v22, 31, v31
	v_add_co_u32 v21, vcc_lo, v17, v31
	s_wait_alu 0xfffd
	s_delay_alu instid0(VALU_DEP_2)
	v_add_co_ci_u32_e64 v22, null, v18, v22, vcc_lo
	s_cbranch_execnz .LBB101_15
	s_branch .LBB101_19
.LBB101_18:                             ;   in Loop: Header=BB101_16 Depth=3
                                        ; implicit-def: $vgpr21_vgpr22
.LBB101_19:                             ;   in Loop: Header=BB101_16 Depth=3
	v_add_co_u32 v21, vcc_lo, v29, v19
	s_wait_alu 0xfffd
	v_add_co_ci_u32_e64 v22, null, v30, v20, vcc_lo
	s_branch .LBB101_15
.LBB101_20:                             ;   in Loop: Header=BB101_9 Depth=1
	s_wait_dscnt 0x3
	ds_bpermute_b32 v17, v24, v11
	s_wait_dscnt 0x3
	ds_bpermute_b32 v18, v24, v12
	;; [unrolled: 2-line block ×4, first 2 shown]
	s_wait_dscnt 0x2
	v_add_f64_e32 v[11:12], v[11:12], v[17:18]
	s_wait_dscnt 0x0
	v_add_f64_e32 v[9:10], v[9:10], v[19:20]
	ds_bpermute_b32 v17, v25, v11
	ds_bpermute_b32 v18, v25, v12
	ds_bpermute_b32 v19, v25, v9
	ds_bpermute_b32 v20, v25, v10
	s_wait_dscnt 0x2
	v_add_f64_e32 v[11:12], v[11:12], v[17:18]
	s_wait_dscnt 0x0
	v_add_f64_e32 v[9:10], v[9:10], v[19:20]
	ds_bpermute_b32 v17, v26, v11
	ds_bpermute_b32 v18, v26, v12
	ds_bpermute_b32 v19, v26, v9
	ds_bpermute_b32 v20, v26, v10
	;; [unrolled: 8-line block ×4, first 2 shown]
	s_and_saveexec_b32 s6, s1
	s_cbranch_execz .LBB101_8
; %bb.21:                               ;   in Loop: Header=BB101_9 Depth=1
	s_wait_dscnt 0x0
	v_add_f64_e32 v[11:12], v[11:12], v[19:20]
	v_add_f64_e32 v[17:18], v[9:10], v[17:18]
	s_delay_alu instid0(VALU_DEP_2) | instskip(SKIP_1) | instid1(VALU_DEP_2)
	v_mul_f64_e64 v[9:10], v[11:12], -v[3:4]
	v_mul_f64_e32 v[11:12], v[1:2], v[11:12]
	v_fma_f64 v[9:10], v[1:2], v[17:18], v[9:10]
	s_delay_alu instid0(VALU_DEP_2) | instskip(SKIP_1) | instid1(VALU_DEP_1)
	v_fma_f64 v[11:12], v[3:4], v[17:18], v[11:12]
	v_add_nc_u32_e32 v17, s13, v13
	v_ashrrev_i32_e32 v18, 31, v17
	s_and_saveexec_b32 s7, s25
	s_wait_alu 0xfffe
	s_xor_b32 s7, exec_lo, s7
	s_cbranch_execz .LBB101_23
; %bb.22:                               ;   in Loop: Header=BB101_9 Depth=1
	v_lshlrev_b64_e32 v[17:18], 4, v[17:18]
	s_delay_alu instid0(VALU_DEP_1) | instskip(SKIP_1) | instid1(VALU_DEP_2)
	v_add_co_u32 v17, vcc_lo, s4, v17
	s_wait_alu 0xfffd
	v_add_co_ci_u32_e64 v18, null, s5, v18, vcc_lo
	global_store_b128 v[17:18], v[9:12], off
                                        ; implicit-def: $vgpr17
                                        ; implicit-def: $vgpr9_vgpr10
.LBB101_23:                             ;   in Loop: Header=BB101_9 Depth=1
	s_wait_alu 0xfffe
	s_and_not1_saveexec_b32 s7, s7
	s_cbranch_execz .LBB101_8
; %bb.24:                               ;   in Loop: Header=BB101_9 Depth=1
	v_lshlrev_b64_e32 v[17:18], 4, v[17:18]
	s_delay_alu instid0(VALU_DEP_1) | instskip(SKIP_1) | instid1(VALU_DEP_2)
	v_add_co_u32 v21, vcc_lo, s4, v17
	s_wait_alu 0xfffd
	v_add_co_ci_u32_e64 v22, null, s5, v18, vcc_lo
	global_load_b128 v[17:20], v[21:22], off
	s_wait_loadcnt 0x0
	v_fma_f64 v[9:10], v[5:6], v[17:18], v[9:10]
	v_fma_f64 v[11:12], v[7:8], v[17:18], v[11:12]
	s_delay_alu instid0(VALU_DEP_2) | instskip(NEXT) | instid1(VALU_DEP_2)
	v_fma_f64 v[9:10], -v[7:8], v[19:20], v[9:10]
	v_fma_f64 v[11:12], v[5:6], v[19:20], v[11:12]
	global_store_b128 v[21:22], v[9:12], off
	s_branch .LBB101_8
.LBB101_25:
	s_endpgm
	.section	.rodata,"a",@progbits
	.p2align	6, 0x0
	.amdhsa_kernel _ZN9rocsparseL22bsrxmvn_general_kernelILj1024ELj32E21rocsparse_complex_numIdEiiS1_IfES2_S2_EEv20rocsparse_direction_NS_24const_host_device_scalarIT1_EET3_PKS8_PKT2_SD_SA_PKT4_S8_PKT5_S7_PT6_21rocsparse_index_base_b
		.amdhsa_group_segment_fixed_size 0
		.amdhsa_private_segment_fixed_size 0
		.amdhsa_kernarg_size 120
		.amdhsa_user_sgpr_count 2
		.amdhsa_user_sgpr_dispatch_ptr 0
		.amdhsa_user_sgpr_queue_ptr 0
		.amdhsa_user_sgpr_kernarg_segment_ptr 1
		.amdhsa_user_sgpr_dispatch_id 0
		.amdhsa_user_sgpr_private_segment_size 0
		.amdhsa_wavefront_size32 1
		.amdhsa_uses_dynamic_stack 0
		.amdhsa_enable_private_segment 0
		.amdhsa_system_sgpr_workgroup_id_x 1
		.amdhsa_system_sgpr_workgroup_id_y 0
		.amdhsa_system_sgpr_workgroup_id_z 0
		.amdhsa_system_sgpr_workgroup_info 0
		.amdhsa_system_vgpr_workitem_id 0
		.amdhsa_next_free_vgpr 38
		.amdhsa_next_free_sgpr 30
		.amdhsa_reserve_vcc 1
		.amdhsa_float_round_mode_32 0
		.amdhsa_float_round_mode_16_64 0
		.amdhsa_float_denorm_mode_32 3
		.amdhsa_float_denorm_mode_16_64 3
		.amdhsa_fp16_overflow 0
		.amdhsa_workgroup_processor_mode 1
		.amdhsa_memory_ordered 1
		.amdhsa_forward_progress 1
		.amdhsa_inst_pref_size 13
		.amdhsa_round_robin_scheduling 0
		.amdhsa_exception_fp_ieee_invalid_op 0
		.amdhsa_exception_fp_denorm_src 0
		.amdhsa_exception_fp_ieee_div_zero 0
		.amdhsa_exception_fp_ieee_overflow 0
		.amdhsa_exception_fp_ieee_underflow 0
		.amdhsa_exception_fp_ieee_inexact 0
		.amdhsa_exception_int_div_zero 0
	.end_amdhsa_kernel
	.section	.text._ZN9rocsparseL22bsrxmvn_general_kernelILj1024ELj32E21rocsparse_complex_numIdEiiS1_IfES2_S2_EEv20rocsparse_direction_NS_24const_host_device_scalarIT1_EET3_PKS8_PKT2_SD_SA_PKT4_S8_PKT5_S7_PT6_21rocsparse_index_base_b,"axG",@progbits,_ZN9rocsparseL22bsrxmvn_general_kernelILj1024ELj32E21rocsparse_complex_numIdEiiS1_IfES2_S2_EEv20rocsparse_direction_NS_24const_host_device_scalarIT1_EET3_PKS8_PKT2_SD_SA_PKT4_S8_PKT5_S7_PT6_21rocsparse_index_base_b,comdat
.Lfunc_end101:
	.size	_ZN9rocsparseL22bsrxmvn_general_kernelILj1024ELj32E21rocsparse_complex_numIdEiiS1_IfES2_S2_EEv20rocsparse_direction_NS_24const_host_device_scalarIT1_EET3_PKS8_PKT2_SD_SA_PKT4_S8_PKT5_S7_PT6_21rocsparse_index_base_b, .Lfunc_end101-_ZN9rocsparseL22bsrxmvn_general_kernelILj1024ELj32E21rocsparse_complex_numIdEiiS1_IfES2_S2_EEv20rocsparse_direction_NS_24const_host_device_scalarIT1_EET3_PKS8_PKT2_SD_SA_PKT4_S8_PKT5_S7_PT6_21rocsparse_index_base_b
                                        ; -- End function
	.set _ZN9rocsparseL22bsrxmvn_general_kernelILj1024ELj32E21rocsparse_complex_numIdEiiS1_IfES2_S2_EEv20rocsparse_direction_NS_24const_host_device_scalarIT1_EET3_PKS8_PKT2_SD_SA_PKT4_S8_PKT5_S7_PT6_21rocsparse_index_base_b.num_vgpr, 38
	.set _ZN9rocsparseL22bsrxmvn_general_kernelILj1024ELj32E21rocsparse_complex_numIdEiiS1_IfES2_S2_EEv20rocsparse_direction_NS_24const_host_device_scalarIT1_EET3_PKS8_PKT2_SD_SA_PKT4_S8_PKT5_S7_PT6_21rocsparse_index_base_b.num_agpr, 0
	.set _ZN9rocsparseL22bsrxmvn_general_kernelILj1024ELj32E21rocsparse_complex_numIdEiiS1_IfES2_S2_EEv20rocsparse_direction_NS_24const_host_device_scalarIT1_EET3_PKS8_PKT2_SD_SA_PKT4_S8_PKT5_S7_PT6_21rocsparse_index_base_b.numbered_sgpr, 30
	.set _ZN9rocsparseL22bsrxmvn_general_kernelILj1024ELj32E21rocsparse_complex_numIdEiiS1_IfES2_S2_EEv20rocsparse_direction_NS_24const_host_device_scalarIT1_EET3_PKS8_PKT2_SD_SA_PKT4_S8_PKT5_S7_PT6_21rocsparse_index_base_b.num_named_barrier, 0
	.set _ZN9rocsparseL22bsrxmvn_general_kernelILj1024ELj32E21rocsparse_complex_numIdEiiS1_IfES2_S2_EEv20rocsparse_direction_NS_24const_host_device_scalarIT1_EET3_PKS8_PKT2_SD_SA_PKT4_S8_PKT5_S7_PT6_21rocsparse_index_base_b.private_seg_size, 0
	.set _ZN9rocsparseL22bsrxmvn_general_kernelILj1024ELj32E21rocsparse_complex_numIdEiiS1_IfES2_S2_EEv20rocsparse_direction_NS_24const_host_device_scalarIT1_EET3_PKS8_PKT2_SD_SA_PKT4_S8_PKT5_S7_PT6_21rocsparse_index_base_b.uses_vcc, 1
	.set _ZN9rocsparseL22bsrxmvn_general_kernelILj1024ELj32E21rocsparse_complex_numIdEiiS1_IfES2_S2_EEv20rocsparse_direction_NS_24const_host_device_scalarIT1_EET3_PKS8_PKT2_SD_SA_PKT4_S8_PKT5_S7_PT6_21rocsparse_index_base_b.uses_flat_scratch, 0
	.set _ZN9rocsparseL22bsrxmvn_general_kernelILj1024ELj32E21rocsparse_complex_numIdEiiS1_IfES2_S2_EEv20rocsparse_direction_NS_24const_host_device_scalarIT1_EET3_PKS8_PKT2_SD_SA_PKT4_S8_PKT5_S7_PT6_21rocsparse_index_base_b.has_dyn_sized_stack, 0
	.set _ZN9rocsparseL22bsrxmvn_general_kernelILj1024ELj32E21rocsparse_complex_numIdEiiS1_IfES2_S2_EEv20rocsparse_direction_NS_24const_host_device_scalarIT1_EET3_PKS8_PKT2_SD_SA_PKT4_S8_PKT5_S7_PT6_21rocsparse_index_base_b.has_recursion, 0
	.set _ZN9rocsparseL22bsrxmvn_general_kernelILj1024ELj32E21rocsparse_complex_numIdEiiS1_IfES2_S2_EEv20rocsparse_direction_NS_24const_host_device_scalarIT1_EET3_PKS8_PKT2_SD_SA_PKT4_S8_PKT5_S7_PT6_21rocsparse_index_base_b.has_indirect_call, 0
	.section	.AMDGPU.csdata,"",@progbits
; Kernel info:
; codeLenInByte = 1660
; TotalNumSgprs: 32
; NumVgprs: 38
; ScratchSize: 0
; MemoryBound: 0
; FloatMode: 240
; IeeeMode: 1
; LDSByteSize: 0 bytes/workgroup (compile time only)
; SGPRBlocks: 0
; VGPRBlocks: 4
; NumSGPRsForWavesPerEU: 32
; NumVGPRsForWavesPerEU: 38
; Occupancy: 16
; WaveLimiterHint : 1
; COMPUTE_PGM_RSRC2:SCRATCH_EN: 0
; COMPUTE_PGM_RSRC2:USER_SGPR: 2
; COMPUTE_PGM_RSRC2:TRAP_HANDLER: 0
; COMPUTE_PGM_RSRC2:TGID_X_EN: 1
; COMPUTE_PGM_RSRC2:TGID_Y_EN: 0
; COMPUTE_PGM_RSRC2:TGID_Z_EN: 0
; COMPUTE_PGM_RSRC2:TIDIG_COMP_CNT: 0
	.section	.text._ZN9rocsparseL22bsrxmvn_general_kernelILj64ELj8E21rocsparse_complex_numIdEliS1_IfES2_S2_EEv20rocsparse_direction_NS_24const_host_device_scalarIT1_EET3_PKS8_PKT2_SD_SA_PKT4_S8_PKT5_S7_PT6_21rocsparse_index_base_b,"axG",@progbits,_ZN9rocsparseL22bsrxmvn_general_kernelILj64ELj8E21rocsparse_complex_numIdEliS1_IfES2_S2_EEv20rocsparse_direction_NS_24const_host_device_scalarIT1_EET3_PKS8_PKT2_SD_SA_PKT4_S8_PKT5_S7_PT6_21rocsparse_index_base_b,comdat
	.globl	_ZN9rocsparseL22bsrxmvn_general_kernelILj64ELj8E21rocsparse_complex_numIdEliS1_IfES2_S2_EEv20rocsparse_direction_NS_24const_host_device_scalarIT1_EET3_PKS8_PKT2_SD_SA_PKT4_S8_PKT5_S7_PT6_21rocsparse_index_base_b ; -- Begin function _ZN9rocsparseL22bsrxmvn_general_kernelILj64ELj8E21rocsparse_complex_numIdEliS1_IfES2_S2_EEv20rocsparse_direction_NS_24const_host_device_scalarIT1_EET3_PKS8_PKT2_SD_SA_PKT4_S8_PKT5_S7_PT6_21rocsparse_index_base_b
	.p2align	8
	.type	_ZN9rocsparseL22bsrxmvn_general_kernelILj64ELj8E21rocsparse_complex_numIdEliS1_IfES2_S2_EEv20rocsparse_direction_NS_24const_host_device_scalarIT1_EET3_PKS8_PKT2_SD_SA_PKT4_S8_PKT5_S7_PT6_21rocsparse_index_base_b,@function
_ZN9rocsparseL22bsrxmvn_general_kernelILj64ELj8E21rocsparse_complex_numIdEliS1_IfES2_S2_EEv20rocsparse_direction_NS_24const_host_device_scalarIT1_EET3_PKS8_PKT2_SD_SA_PKT4_S8_PKT5_S7_PT6_21rocsparse_index_base_b: ; @_ZN9rocsparseL22bsrxmvn_general_kernelILj64ELj8E21rocsparse_complex_numIdEliS1_IfES2_S2_EEv20rocsparse_direction_NS_24const_host_device_scalarIT1_EET3_PKS8_PKT2_SD_SA_PKT4_S8_PKT5_S7_PT6_21rocsparse_index_base_b
; %bb.0:
	s_clause 0x1
	s_load_b64 s[12:13], s[0:1], 0x70
	s_load_b64 s[2:3], s[0:1], 0x8
	s_add_nc_u64 s[4:5], s[0:1], 8
	s_load_b64 s[6:7], s[0:1], 0x58
	s_wait_kmcnt 0x0
	s_bitcmp1_b32 s13, 0
	s_cselect_b32 s2, s4, s2
	s_cselect_b32 s3, s5, s3
	s_delay_alu instid0(SALU_CYCLE_1)
	v_dual_mov_b32 v1, s2 :: v_dual_mov_b32 v2, s3
	s_add_nc_u64 s[2:3], s[0:1], 0x58
	s_wait_alu 0xfffe
	s_cselect_b32 s2, s2, s6
	s_cselect_b32 s3, s3, s7
	flat_load_b128 v[1:4], v[1:2]
	s_wait_alu 0xfffe
	v_dual_mov_b32 v5, s2 :: v_dual_mov_b32 v6, s3
	flat_load_b128 v[5:8], v[5:6]
	s_wait_loadcnt_dscnt 0x101
	v_cmp_eq_f64_e32 vcc_lo, 0, v[1:2]
	v_cmp_eq_f64_e64 s2, 0, v[3:4]
	s_and_b32 s4, vcc_lo, s2
	s_mov_b32 s2, -1
	s_and_saveexec_b32 s3, s4
	s_cbranch_execz .LBB102_2
; %bb.1:
	s_wait_loadcnt_dscnt 0x0
	v_cmp_neq_f64_e32 vcc_lo, 1.0, v[5:6]
	v_cmp_neq_f64_e64 s2, 0, v[7:8]
	s_wait_alu 0xfffe
	s_or_b32 s2, vcc_lo, s2
	s_wait_alu 0xfffe
	s_or_not1_b32 s2, s2, exec_lo
.LBB102_2:
	s_wait_alu 0xfffe
	s_or_b32 exec_lo, exec_lo, s3
	s_and_saveexec_b32 s3, s2
	s_cbranch_execz .LBB102_25
; %bb.3:
	s_load_b64 s[2:3], s[0:1], 0x20
	s_wait_kmcnt 0x0
	s_cmp_eq_u64 s[2:3], 0
	s_cbranch_scc1 .LBB102_5
; %bb.4:
	s_mov_b32 s4, ttmp9
	s_ashr_i32 s5, ttmp9, 31
	s_delay_alu instid0(SALU_CYCLE_1) | instskip(NEXT) | instid1(SALU_CYCLE_1)
	s_lshl_b64 s[4:5], s[4:5], 2
	s_add_nc_u64 s[2:3], s[2:3], s[4:5]
	s_load_b32 s2, s[2:3], 0x0
	s_wait_kmcnt 0x0
	s_sub_co_i32 s20, s2, s12
	s_branch .LBB102_6
.LBB102_5:
	s_mov_b32 s20, ttmp9
.LBB102_6:
	s_load_b32 s14, s[0:1], 0x48
	v_lshrrev_b32_e32 v13, 3, v0
	s_wait_kmcnt 0x0
	s_delay_alu instid0(VALU_DEP_1)
	v_cmp_gt_i32_e32 vcc_lo, s14, v13
	s_and_b32 exec_lo, exec_lo, vcc_lo
	s_cbranch_execz .LBB102_25
; %bb.7:
	s_load_b256 s[4:11], s[0:1], 0x28
	s_wait_loadcnt_dscnt 0x0
	v_cmp_eq_f64_e32 vcc_lo, 0, v[5:6]
	v_cmp_eq_f64_e64 s2, 0, v[7:8]
	s_ashr_i32 s21, s20, 31
	v_mbcnt_lo_u32_b32 v9, -1, 0
	s_clause 0x2
	s_load_b64 s[16:17], s[0:1], 0x68
	s_load_b64 s[18:19], s[0:1], 0x50
	s_load_b32 s24, s[0:1], 0x0
	s_lshl_b64 s[0:1], s[20:21], 3
	v_dual_mov_b32 v16, 0 :: v_dual_and_b32 v15, 7, v0
	v_xor_b32_e32 v10, 4, v9
	v_xor_b32_e32 v11, 2, v9
	;; [unrolled: 1-line block ×3, first 2 shown]
	s_mov_b32 s13, 0
	v_mul_lo_u32 v0, s14, v13
	v_cmp_gt_i32_e64 s3, 32, v10
	v_mul_lo_u32 v23, s14, v15
	s_mov_b32 s15, s13
	s_wait_alu 0xf1ff
	v_cndmask_b32_e64 v10, v9, v10, s3
	s_wait_kmcnt 0x0
	s_add_nc_u64 s[22:23], s[4:5], s[0:1]
	s_add_nc_u64 s[0:1], s[6:7], s[0:1]
	s_cmp_eq_u64 s[6:7], 0
	s_add_nc_u64 s[6:7], s[22:23], 8
	v_cmp_gt_i32_e64 s3, 32, v11
	s_cselect_b32 s1, s7, s1
	s_cselect_b32 s0, s6, s0
	s_load_b64 s[22:23], s[22:23], 0x0
	s_load_b64 s[26:27], s[0:1], 0x0
	s_cmp_lg_u32 s24, 0
	v_cndmask_b32_e64 v11, v9, v11, s3
	v_cmp_gt_i32_e64 s3, 32, v12
	v_cmp_gt_u32_e64 s0, s14, v15
	v_cmp_eq_u32_e64 s1, 7, v15
	v_lshlrev_b32_e32 v24, 2, v10
	v_lshlrev_b32_e32 v25, 2, v11
	s_wait_alu 0xf1ff
	v_cndmask_b32_e64 v9, v9, v12, s3
	s_mul_u64 s[4:5], s[14:15], s[14:15]
	s_cselect_b32 s15, -1, 0
	s_and_b32 s24, vcc_lo, s2
	s_delay_alu instid0(VALU_DEP_1)
	v_lshlrev_b32_e32 v26, 2, v9
	s_wait_kmcnt 0x0
	s_sub_nc_u64 s[2:3], s[22:23], s[12:13]
	v_cmp_lt_i64_e64 s25, s[22:23], s[26:27]
	s_sub_nc_u64 s[6:7], s[26:27], s[12:13]
	s_mul_i32 s26, s20, s14
	s_wait_alu 0xfffe
	s_mul_u64 s[20:21], s[2:3], s[4:5]
	s_lshl_b32 s27, s14, 3
	s_branch .LBB102_9
.LBB102_8:                              ;   in Loop: Header=BB102_9 Depth=1
	s_wait_alu 0xfffe
	s_or_b32 exec_lo, exec_lo, s22
	v_add_nc_u32_e32 v13, 8, v13
	v_add_nc_u32_e32 v0, s27, v0
	s_delay_alu instid0(VALU_DEP_2) | instskip(SKIP_1) | instid1(SALU_CYCLE_1)
	v_cmp_le_i32_e32 vcc_lo, s14, v13
	s_or_b32 s13, vcc_lo, s13
	s_and_not1_b32 exec_lo, exec_lo, s13
	s_cbranch_execz .LBB102_25
.LBB102_9:                              ; =>This Loop Header: Depth=1
                                        ;     Child Loop BB102_13 Depth 2
                                        ;       Child Loop BB102_16 Depth 3
	v_mov_b32_e32 v9, 0
	v_dual_mov_b32 v10, 0 :: v_dual_mov_b32 v11, 0
	v_mov_b32_e32 v12, 0
	s_and_not1_b32 vcc_lo, exec_lo, s25
	s_wait_alu 0xfffe
	s_cbranch_vccnz .LBB102_20
; %bb.10:                               ;   in Loop: Header=BB102_9 Depth=1
	v_ashrrev_i32_e32 v11, 31, v0
	v_add_co_u32 v27, vcc_lo, s20, v0
	v_mov_b32_e32 v9, 0
	v_mov_b32_e32 v10, 0
	s_wait_alu 0xfffd
	v_add_co_ci_u32_e64 v28, null, s21, v11, vcc_lo
	v_mov_b32_e32 v11, 0
	v_mov_b32_e32 v12, 0
	v_ashrrev_i32_e32 v14, 31, v13
	s_mov_b64 s[22:23], s[2:3]
	s_branch .LBB102_13
.LBB102_11:                             ;   in Loop: Header=BB102_13 Depth=2
	s_or_b32 exec_lo, exec_lo, s29
.LBB102_12:                             ;   in Loop: Header=BB102_13 Depth=2
	s_delay_alu instid0(SALU_CYCLE_1)
	s_or_b32 exec_lo, exec_lo, s28
	s_wait_alu 0xfffe
	s_add_nc_u64 s[22:23], s[22:23], 1
	v_add_co_u32 v27, vcc_lo, v27, s4
	s_wait_alu 0xfffe
	v_cmp_ge_i64_e64 s28, s[22:23], s[6:7]
	s_wait_alu 0xfffd
	v_add_co_ci_u32_e64 v28, null, s5, v28, vcc_lo
	s_and_b32 vcc_lo, exec_lo, s28
	s_wait_alu 0xfffe
	s_cbranch_vccnz .LBB102_20
.LBB102_13:                             ;   Parent Loop BB102_9 Depth=1
                                        ; =>  This Loop Header: Depth=2
                                        ;       Child Loop BB102_16 Depth 3
	s_and_saveexec_b32 s28, s0
	s_cbranch_execz .LBB102_12
; %bb.14:                               ;   in Loop: Header=BB102_13 Depth=2
	s_wait_alu 0xfffe
	s_lshl_b64 s[30:31], s[22:23], 2
	s_wait_dscnt 0x2
	v_mad_co_u64_u32 v[17:18], null, s4, s22, v[13:14]
	s_wait_alu 0xfffe
	s_add_nc_u64 s[30:31], s[8:9], s[30:31]
	s_wait_dscnt 0x0
	v_dual_mov_b32 v29, v23 :: v_dual_mov_b32 v20, v16
	s_load_b32 s29, s[30:31], 0x0
	s_mul_i32 s30, s5, s22
	s_mul_i32 s31, s4, s23
	v_mov_b32_e32 v19, v15
	s_wait_alu 0xfffe
	v_add3_u32 v18, s31, s30, v18
	s_wait_kmcnt 0x0
	s_sub_co_i32 s29, s29, s12
	s_delay_alu instid0(SALU_CYCLE_1)
	s_mul_i32 s30, s29, s14
	s_mov_b32 s29, 0
	s_branch .LBB102_16
.LBB102_15:                             ;   in Loop: Header=BB102_16 Depth=3
	s_delay_alu instid0(VALU_DEP_1) | instskip(SKIP_2) | instid1(VALU_DEP_2)
	v_lshlrev_b64_e32 v[21:22], 3, v[21:22]
	v_add_nc_u32_e32 v30, s30, v19
	v_add_nc_u32_e32 v29, s27, v29
	v_ashrrev_i32_e32 v31, 31, v30
	s_delay_alu instid0(VALU_DEP_4) | instskip(SKIP_2) | instid1(VALU_DEP_3)
	v_add_co_u32 v21, vcc_lo, s10, v21
	s_wait_alu 0xfffd
	v_add_co_ci_u32_e64 v22, null, s11, v22, vcc_lo
	v_lshlrev_b64_e32 v[30:31], 4, v[30:31]
	global_load_b64 v[21:22], v[21:22], off
	v_add_co_u32 v30, vcc_lo, s18, v30
	s_wait_alu 0xfffd
	v_add_co_ci_u32_e64 v31, null, s19, v31, vcc_lo
	v_add_co_u32 v19, vcc_lo, v19, 8
	s_wait_alu 0xfffd
	v_add_co_ci_u32_e64 v20, null, 0, v20, vcc_lo
	global_load_b128 v[30:33], v[30:31], off
	v_cmp_le_i32_e32 vcc_lo, s14, v19
	s_or_b32 s29, vcc_lo, s29
	s_wait_loadcnt 0x1
	v_cvt_f64_f32_e32 v[34:35], v21
	v_cvt_f64_f32_e32 v[21:22], v22
	s_wait_loadcnt 0x0
	s_delay_alu instid0(VALU_DEP_2) | instskip(NEXT) | instid1(VALU_DEP_2)
	v_fma_f64 v[11:12], v[34:35], v[30:31], v[11:12]
	v_fma_f64 v[9:10], v[21:22], v[30:31], v[9:10]
	s_delay_alu instid0(VALU_DEP_2) | instskip(NEXT) | instid1(VALU_DEP_2)
	v_fma_f64 v[11:12], -v[21:22], v[32:33], v[11:12]
	v_fma_f64 v[9:10], v[34:35], v[32:33], v[9:10]
	s_and_not1_b32 exec_lo, exec_lo, s29
	s_cbranch_execz .LBB102_11
.LBB102_16:                             ;   Parent Loop BB102_9 Depth=1
                                        ;     Parent Loop BB102_13 Depth=2
                                        ; =>    This Inner Loop Header: Depth=3
	s_and_b32 vcc_lo, exec_lo, s15
	s_wait_alu 0xfffe
	s_cbranch_vccz .LBB102_18
; %bb.17:                               ;   in Loop: Header=BB102_16 Depth=3
	v_ashrrev_i32_e32 v22, 31, v29
	v_add_co_u32 v21, vcc_lo, v17, v29
	s_wait_alu 0xfffd
	s_delay_alu instid0(VALU_DEP_2)
	v_add_co_ci_u32_e64 v22, null, v18, v22, vcc_lo
	s_cbranch_execnz .LBB102_15
	s_branch .LBB102_19
.LBB102_18:                             ;   in Loop: Header=BB102_16 Depth=3
                                        ; implicit-def: $vgpr21_vgpr22
.LBB102_19:                             ;   in Loop: Header=BB102_16 Depth=3
	v_add_co_u32 v21, vcc_lo, v27, v19
	s_wait_alu 0xfffd
	v_add_co_ci_u32_e64 v22, null, v28, v20, vcc_lo
	s_branch .LBB102_15
.LBB102_20:                             ;   in Loop: Header=BB102_9 Depth=1
	s_wait_dscnt 0x3
	ds_bpermute_b32 v17, v24, v11
	s_wait_dscnt 0x3
	ds_bpermute_b32 v18, v24, v12
	;; [unrolled: 2-line block ×4, first 2 shown]
	s_wait_dscnt 0x2
	v_add_f64_e32 v[11:12], v[11:12], v[17:18]
	s_wait_dscnt 0x0
	v_add_f64_e32 v[17:18], v[9:10], v[19:20]
	ds_bpermute_b32 v9, v25, v11
	ds_bpermute_b32 v10, v25, v12
	;; [unrolled: 1-line block ×4, first 2 shown]
	s_wait_dscnt 0x2
	v_add_f64_e32 v[9:10], v[11:12], v[9:10]
	s_wait_dscnt 0x0
	v_add_f64_e32 v[11:12], v[17:18], v[19:20]
	ds_bpermute_b32 v17, v26, v9
	ds_bpermute_b32 v18, v26, v10
	;; [unrolled: 1-line block ×4, first 2 shown]
	s_and_saveexec_b32 s22, s1
	s_cbranch_execz .LBB102_8
; %bb.21:                               ;   in Loop: Header=BB102_9 Depth=1
	s_wait_dscnt 0x0
	v_add_f64_e32 v[11:12], v[11:12], v[19:20]
	v_add_f64_e32 v[17:18], v[9:10], v[17:18]
	s_delay_alu instid0(VALU_DEP_2) | instskip(SKIP_1) | instid1(VALU_DEP_2)
	v_mul_f64_e64 v[9:10], v[11:12], -v[3:4]
	v_mul_f64_e32 v[11:12], v[1:2], v[11:12]
	v_fma_f64 v[9:10], v[1:2], v[17:18], v[9:10]
	s_delay_alu instid0(VALU_DEP_2) | instskip(SKIP_1) | instid1(VALU_DEP_1)
	v_fma_f64 v[11:12], v[3:4], v[17:18], v[11:12]
	v_add_nc_u32_e32 v17, s26, v13
	v_ashrrev_i32_e32 v18, 31, v17
	s_and_saveexec_b32 s23, s24
	s_wait_alu 0xfffe
	s_xor_b32 s23, exec_lo, s23
	s_cbranch_execz .LBB102_23
; %bb.22:                               ;   in Loop: Header=BB102_9 Depth=1
	v_lshlrev_b64_e32 v[17:18], 4, v[17:18]
	s_delay_alu instid0(VALU_DEP_1) | instskip(SKIP_1) | instid1(VALU_DEP_2)
	v_add_co_u32 v17, vcc_lo, s16, v17
	s_wait_alu 0xfffd
	v_add_co_ci_u32_e64 v18, null, s17, v18, vcc_lo
	global_store_b128 v[17:18], v[9:12], off
                                        ; implicit-def: $vgpr17
                                        ; implicit-def: $vgpr9_vgpr10
.LBB102_23:                             ;   in Loop: Header=BB102_9 Depth=1
	s_wait_alu 0xfffe
	s_and_not1_saveexec_b32 s23, s23
	s_cbranch_execz .LBB102_8
; %bb.24:                               ;   in Loop: Header=BB102_9 Depth=1
	v_lshlrev_b64_e32 v[17:18], 4, v[17:18]
	s_delay_alu instid0(VALU_DEP_1) | instskip(SKIP_1) | instid1(VALU_DEP_2)
	v_add_co_u32 v21, vcc_lo, s16, v17
	s_wait_alu 0xfffd
	v_add_co_ci_u32_e64 v22, null, s17, v18, vcc_lo
	global_load_b128 v[17:20], v[21:22], off
	s_wait_loadcnt 0x0
	v_fma_f64 v[9:10], v[5:6], v[17:18], v[9:10]
	v_fma_f64 v[11:12], v[7:8], v[17:18], v[11:12]
	s_delay_alu instid0(VALU_DEP_2) | instskip(NEXT) | instid1(VALU_DEP_2)
	v_fma_f64 v[9:10], -v[7:8], v[19:20], v[9:10]
	v_fma_f64 v[11:12], v[5:6], v[19:20], v[11:12]
	global_store_b128 v[21:22], v[9:12], off
	s_branch .LBB102_8
.LBB102_25:
	s_endpgm
	.section	.rodata,"a",@progbits
	.p2align	6, 0x0
	.amdhsa_kernel _ZN9rocsparseL22bsrxmvn_general_kernelILj64ELj8E21rocsparse_complex_numIdEliS1_IfES2_S2_EEv20rocsparse_direction_NS_24const_host_device_scalarIT1_EET3_PKS8_PKT2_SD_SA_PKT4_S8_PKT5_S7_PT6_21rocsparse_index_base_b
		.amdhsa_group_segment_fixed_size 0
		.amdhsa_private_segment_fixed_size 0
		.amdhsa_kernarg_size 120
		.amdhsa_user_sgpr_count 2
		.amdhsa_user_sgpr_dispatch_ptr 0
		.amdhsa_user_sgpr_queue_ptr 0
		.amdhsa_user_sgpr_kernarg_segment_ptr 1
		.amdhsa_user_sgpr_dispatch_id 0
		.amdhsa_user_sgpr_private_segment_size 0
		.amdhsa_wavefront_size32 1
		.amdhsa_uses_dynamic_stack 0
		.amdhsa_enable_private_segment 0
		.amdhsa_system_sgpr_workgroup_id_x 1
		.amdhsa_system_sgpr_workgroup_id_y 0
		.amdhsa_system_sgpr_workgroup_id_z 0
		.amdhsa_system_sgpr_workgroup_info 0
		.amdhsa_system_vgpr_workitem_id 0
		.amdhsa_next_free_vgpr 36
		.amdhsa_next_free_sgpr 32
		.amdhsa_reserve_vcc 1
		.amdhsa_float_round_mode_32 0
		.amdhsa_float_round_mode_16_64 0
		.amdhsa_float_denorm_mode_32 3
		.amdhsa_float_denorm_mode_16_64 3
		.amdhsa_fp16_overflow 0
		.amdhsa_workgroup_processor_mode 1
		.amdhsa_memory_ordered 1
		.amdhsa_forward_progress 1
		.amdhsa_inst_pref_size 12
		.amdhsa_round_robin_scheduling 0
		.amdhsa_exception_fp_ieee_invalid_op 0
		.amdhsa_exception_fp_denorm_src 0
		.amdhsa_exception_fp_ieee_div_zero 0
		.amdhsa_exception_fp_ieee_overflow 0
		.amdhsa_exception_fp_ieee_underflow 0
		.amdhsa_exception_fp_ieee_inexact 0
		.amdhsa_exception_int_div_zero 0
	.end_amdhsa_kernel
	.section	.text._ZN9rocsparseL22bsrxmvn_general_kernelILj64ELj8E21rocsparse_complex_numIdEliS1_IfES2_S2_EEv20rocsparse_direction_NS_24const_host_device_scalarIT1_EET3_PKS8_PKT2_SD_SA_PKT4_S8_PKT5_S7_PT6_21rocsparse_index_base_b,"axG",@progbits,_ZN9rocsparseL22bsrxmvn_general_kernelILj64ELj8E21rocsparse_complex_numIdEliS1_IfES2_S2_EEv20rocsparse_direction_NS_24const_host_device_scalarIT1_EET3_PKS8_PKT2_SD_SA_PKT4_S8_PKT5_S7_PT6_21rocsparse_index_base_b,comdat
.Lfunc_end102:
	.size	_ZN9rocsparseL22bsrxmvn_general_kernelILj64ELj8E21rocsparse_complex_numIdEliS1_IfES2_S2_EEv20rocsparse_direction_NS_24const_host_device_scalarIT1_EET3_PKS8_PKT2_SD_SA_PKT4_S8_PKT5_S7_PT6_21rocsparse_index_base_b, .Lfunc_end102-_ZN9rocsparseL22bsrxmvn_general_kernelILj64ELj8E21rocsparse_complex_numIdEliS1_IfES2_S2_EEv20rocsparse_direction_NS_24const_host_device_scalarIT1_EET3_PKS8_PKT2_SD_SA_PKT4_S8_PKT5_S7_PT6_21rocsparse_index_base_b
                                        ; -- End function
	.set _ZN9rocsparseL22bsrxmvn_general_kernelILj64ELj8E21rocsparse_complex_numIdEliS1_IfES2_S2_EEv20rocsparse_direction_NS_24const_host_device_scalarIT1_EET3_PKS8_PKT2_SD_SA_PKT4_S8_PKT5_S7_PT6_21rocsparse_index_base_b.num_vgpr, 36
	.set _ZN9rocsparseL22bsrxmvn_general_kernelILj64ELj8E21rocsparse_complex_numIdEliS1_IfES2_S2_EEv20rocsparse_direction_NS_24const_host_device_scalarIT1_EET3_PKS8_PKT2_SD_SA_PKT4_S8_PKT5_S7_PT6_21rocsparse_index_base_b.num_agpr, 0
	.set _ZN9rocsparseL22bsrxmvn_general_kernelILj64ELj8E21rocsparse_complex_numIdEliS1_IfES2_S2_EEv20rocsparse_direction_NS_24const_host_device_scalarIT1_EET3_PKS8_PKT2_SD_SA_PKT4_S8_PKT5_S7_PT6_21rocsparse_index_base_b.numbered_sgpr, 32
	.set _ZN9rocsparseL22bsrxmvn_general_kernelILj64ELj8E21rocsparse_complex_numIdEliS1_IfES2_S2_EEv20rocsparse_direction_NS_24const_host_device_scalarIT1_EET3_PKS8_PKT2_SD_SA_PKT4_S8_PKT5_S7_PT6_21rocsparse_index_base_b.num_named_barrier, 0
	.set _ZN9rocsparseL22bsrxmvn_general_kernelILj64ELj8E21rocsparse_complex_numIdEliS1_IfES2_S2_EEv20rocsparse_direction_NS_24const_host_device_scalarIT1_EET3_PKS8_PKT2_SD_SA_PKT4_S8_PKT5_S7_PT6_21rocsparse_index_base_b.private_seg_size, 0
	.set _ZN9rocsparseL22bsrxmvn_general_kernelILj64ELj8E21rocsparse_complex_numIdEliS1_IfES2_S2_EEv20rocsparse_direction_NS_24const_host_device_scalarIT1_EET3_PKS8_PKT2_SD_SA_PKT4_S8_PKT5_S7_PT6_21rocsparse_index_base_b.uses_vcc, 1
	.set _ZN9rocsparseL22bsrxmvn_general_kernelILj64ELj8E21rocsparse_complex_numIdEliS1_IfES2_S2_EEv20rocsparse_direction_NS_24const_host_device_scalarIT1_EET3_PKS8_PKT2_SD_SA_PKT4_S8_PKT5_S7_PT6_21rocsparse_index_base_b.uses_flat_scratch, 0
	.set _ZN9rocsparseL22bsrxmvn_general_kernelILj64ELj8E21rocsparse_complex_numIdEliS1_IfES2_S2_EEv20rocsparse_direction_NS_24const_host_device_scalarIT1_EET3_PKS8_PKT2_SD_SA_PKT4_S8_PKT5_S7_PT6_21rocsparse_index_base_b.has_dyn_sized_stack, 0
	.set _ZN9rocsparseL22bsrxmvn_general_kernelILj64ELj8E21rocsparse_complex_numIdEliS1_IfES2_S2_EEv20rocsparse_direction_NS_24const_host_device_scalarIT1_EET3_PKS8_PKT2_SD_SA_PKT4_S8_PKT5_S7_PT6_21rocsparse_index_base_b.has_recursion, 0
	.set _ZN9rocsparseL22bsrxmvn_general_kernelILj64ELj8E21rocsparse_complex_numIdEliS1_IfES2_S2_EEv20rocsparse_direction_NS_24const_host_device_scalarIT1_EET3_PKS8_PKT2_SD_SA_PKT4_S8_PKT5_S7_PT6_21rocsparse_index_base_b.has_indirect_call, 0
	.section	.AMDGPU.csdata,"",@progbits
; Kernel info:
; codeLenInByte = 1508
; TotalNumSgprs: 34
; NumVgprs: 36
; ScratchSize: 0
; MemoryBound: 0
; FloatMode: 240
; IeeeMode: 1
; LDSByteSize: 0 bytes/workgroup (compile time only)
; SGPRBlocks: 0
; VGPRBlocks: 4
; NumSGPRsForWavesPerEU: 34
; NumVGPRsForWavesPerEU: 36
; Occupancy: 16
; WaveLimiterHint : 1
; COMPUTE_PGM_RSRC2:SCRATCH_EN: 0
; COMPUTE_PGM_RSRC2:USER_SGPR: 2
; COMPUTE_PGM_RSRC2:TRAP_HANDLER: 0
; COMPUTE_PGM_RSRC2:TGID_X_EN: 1
; COMPUTE_PGM_RSRC2:TGID_Y_EN: 0
; COMPUTE_PGM_RSRC2:TGID_Z_EN: 0
; COMPUTE_PGM_RSRC2:TIDIG_COMP_CNT: 0
	.section	.text._ZN9rocsparseL22bsrxmvn_general_kernelILj256ELj16E21rocsparse_complex_numIdEliS1_IfES2_S2_EEv20rocsparse_direction_NS_24const_host_device_scalarIT1_EET3_PKS8_PKT2_SD_SA_PKT4_S8_PKT5_S7_PT6_21rocsparse_index_base_b,"axG",@progbits,_ZN9rocsparseL22bsrxmvn_general_kernelILj256ELj16E21rocsparse_complex_numIdEliS1_IfES2_S2_EEv20rocsparse_direction_NS_24const_host_device_scalarIT1_EET3_PKS8_PKT2_SD_SA_PKT4_S8_PKT5_S7_PT6_21rocsparse_index_base_b,comdat
	.globl	_ZN9rocsparseL22bsrxmvn_general_kernelILj256ELj16E21rocsparse_complex_numIdEliS1_IfES2_S2_EEv20rocsparse_direction_NS_24const_host_device_scalarIT1_EET3_PKS8_PKT2_SD_SA_PKT4_S8_PKT5_S7_PT6_21rocsparse_index_base_b ; -- Begin function _ZN9rocsparseL22bsrxmvn_general_kernelILj256ELj16E21rocsparse_complex_numIdEliS1_IfES2_S2_EEv20rocsparse_direction_NS_24const_host_device_scalarIT1_EET3_PKS8_PKT2_SD_SA_PKT4_S8_PKT5_S7_PT6_21rocsparse_index_base_b
	.p2align	8
	.type	_ZN9rocsparseL22bsrxmvn_general_kernelILj256ELj16E21rocsparse_complex_numIdEliS1_IfES2_S2_EEv20rocsparse_direction_NS_24const_host_device_scalarIT1_EET3_PKS8_PKT2_SD_SA_PKT4_S8_PKT5_S7_PT6_21rocsparse_index_base_b,@function
_ZN9rocsparseL22bsrxmvn_general_kernelILj256ELj16E21rocsparse_complex_numIdEliS1_IfES2_S2_EEv20rocsparse_direction_NS_24const_host_device_scalarIT1_EET3_PKS8_PKT2_SD_SA_PKT4_S8_PKT5_S7_PT6_21rocsparse_index_base_b: ; @_ZN9rocsparseL22bsrxmvn_general_kernelILj256ELj16E21rocsparse_complex_numIdEliS1_IfES2_S2_EEv20rocsparse_direction_NS_24const_host_device_scalarIT1_EET3_PKS8_PKT2_SD_SA_PKT4_S8_PKT5_S7_PT6_21rocsparse_index_base_b
; %bb.0:
	s_clause 0x1
	s_load_b64 s[12:13], s[0:1], 0x70
	s_load_b64 s[2:3], s[0:1], 0x8
	s_add_nc_u64 s[4:5], s[0:1], 8
	s_load_b64 s[6:7], s[0:1], 0x58
	s_wait_kmcnt 0x0
	s_bitcmp1_b32 s13, 0
	s_cselect_b32 s2, s4, s2
	s_cselect_b32 s3, s5, s3
	s_delay_alu instid0(SALU_CYCLE_1)
	v_dual_mov_b32 v1, s2 :: v_dual_mov_b32 v2, s3
	s_add_nc_u64 s[2:3], s[0:1], 0x58
	s_wait_alu 0xfffe
	s_cselect_b32 s2, s2, s6
	s_cselect_b32 s3, s3, s7
	flat_load_b128 v[1:4], v[1:2]
	s_wait_alu 0xfffe
	v_dual_mov_b32 v5, s2 :: v_dual_mov_b32 v6, s3
	flat_load_b128 v[5:8], v[5:6]
	s_wait_loadcnt_dscnt 0x101
	v_cmp_eq_f64_e32 vcc_lo, 0, v[1:2]
	v_cmp_eq_f64_e64 s2, 0, v[3:4]
	s_and_b32 s4, vcc_lo, s2
	s_mov_b32 s2, -1
	s_and_saveexec_b32 s3, s4
	s_cbranch_execz .LBB103_2
; %bb.1:
	s_wait_loadcnt_dscnt 0x0
	v_cmp_neq_f64_e32 vcc_lo, 1.0, v[5:6]
	v_cmp_neq_f64_e64 s2, 0, v[7:8]
	s_wait_alu 0xfffe
	s_or_b32 s2, vcc_lo, s2
	s_wait_alu 0xfffe
	s_or_not1_b32 s2, s2, exec_lo
.LBB103_2:
	s_wait_alu 0xfffe
	s_or_b32 exec_lo, exec_lo, s3
	s_and_saveexec_b32 s3, s2
	s_cbranch_execz .LBB103_25
; %bb.3:
	s_load_b64 s[2:3], s[0:1], 0x20
	s_wait_kmcnt 0x0
	s_cmp_eq_u64 s[2:3], 0
	s_cbranch_scc1 .LBB103_5
; %bb.4:
	s_mov_b32 s4, ttmp9
	s_ashr_i32 s5, ttmp9, 31
	s_delay_alu instid0(SALU_CYCLE_1) | instskip(NEXT) | instid1(SALU_CYCLE_1)
	s_lshl_b64 s[4:5], s[4:5], 2
	s_add_nc_u64 s[2:3], s[2:3], s[4:5]
	s_load_b32 s2, s[2:3], 0x0
	s_wait_kmcnt 0x0
	s_sub_co_i32 s22, s2, s12
	s_branch .LBB103_6
.LBB103_5:
	s_mov_b32 s22, ttmp9
.LBB103_6:
	s_load_b32 s14, s[0:1], 0x48
	v_lshrrev_b32_e32 v13, 4, v0
	s_wait_kmcnt 0x0
	s_delay_alu instid0(VALU_DEP_1)
	v_cmp_gt_i32_e32 vcc_lo, s14, v13
	s_and_b32 exec_lo, exec_lo, vcc_lo
	s_cbranch_execz .LBB103_25
; %bb.7:
	s_clause 0x2
	s_load_b256 s[4:11], s[0:1], 0x28
	s_load_b64 s[16:17], s[0:1], 0x68
	s_load_b64 s[18:19], s[0:1], 0x50
	s_wait_loadcnt_dscnt 0x0
	v_cmp_eq_f64_e32 vcc_lo, 0, v[5:6]
	v_cmp_eq_f64_e64 s2, 0, v[7:8]
	v_mbcnt_lo_u32_b32 v9, -1, 0
	s_ashr_i32 s23, s22, 31
	s_load_b32 s28, s[0:1], 0x0
	s_lshl_b64 s[24:25], s[22:23], 3
	v_dual_mov_b32 v16, 0 :: v_dual_and_b32 v15, 15, v0
	v_xor_b32_e32 v10, 8, v9
	v_xor_b32_e32 v11, 4, v9
	;; [unrolled: 1-line block ×4, first 2 shown]
	s_mov_b32 s13, 0
	v_cmp_gt_i32_e64 s3, 32, v10
	v_mul_lo_u32 v0, s14, v13
	v_mul_lo_u32 v23, s14, v15
	s_mov_b32 s15, s13
	s_wait_kmcnt 0x0
	s_add_nc_u64 s[4:5], s[4:5], s[24:25]
	s_add_nc_u64 s[24:25], s[6:7], s[24:25]
	s_cmp_eq_u64 s[6:7], 0
	s_add_nc_u64 s[6:7], s[4:5], 8
	s_wait_alu 0xf1ff
	v_cndmask_b32_e64 v10, v9, v10, s3
	s_cselect_b32 s7, s7, s25
	s_cselect_b32 s6, s6, s24
	s_load_b64 s[26:27], s[4:5], 0x0
	s_load_b64 s[6:7], s[6:7], 0x0
	v_cmp_gt_i32_e64 s3, 32, v11
	s_cmp_lg_u32 s28, 0
	v_cmp_gt_u32_e64 s0, s14, v15
	v_cmp_eq_u32_e64 s1, 15, v15
	v_lshlrev_b32_e32 v24, 2, v10
	s_wait_alu 0xf1ff
	v_cndmask_b32_e64 v11, v9, v11, s3
	v_cmp_gt_i32_e64 s3, 32, v12
	s_mul_u64 s[20:21], s[14:15], s[14:15]
	s_cselect_b32 s15, -1, 0
	v_lshlrev_b32_e32 v25, 2, v11
	v_cndmask_b32_e64 v12, v9, v12, s3
	v_cmp_gt_i32_e64 s3, 32, v14
	s_and_b32 s24, vcc_lo, s2
	v_lshlrev_b32_e32 v26, 2, v12
	v_cndmask_b32_e64 v9, v9, v14, s3
	s_wait_kmcnt 0x0
	s_sub_nc_u64 s[2:3], s[26:27], s[12:13]
	v_cmp_lt_i64_e64 s25, s[26:27], s[6:7]
	s_sub_nc_u64 s[4:5], s[6:7], s[12:13]
	s_mul_i32 s26, s22, s14
	v_lshlrev_b32_e32 v27, 2, v9
	s_wait_alu 0xfffe
	s_mul_u64 s[6:7], s[2:3], s[20:21]
	s_lshl_b32 s27, s14, 4
	s_branch .LBB103_9
.LBB103_8:                              ;   in Loop: Header=BB103_9 Depth=1
	s_wait_alu 0xfffe
	s_or_b32 exec_lo, exec_lo, s22
	v_add_nc_u32_e32 v13, 16, v13
	v_add_nc_u32_e32 v0, s27, v0
	s_delay_alu instid0(VALU_DEP_2) | instskip(SKIP_1) | instid1(SALU_CYCLE_1)
	v_cmp_le_i32_e32 vcc_lo, s14, v13
	s_or_b32 s13, vcc_lo, s13
	s_and_not1_b32 exec_lo, exec_lo, s13
	s_cbranch_execz .LBB103_25
.LBB103_9:                              ; =>This Loop Header: Depth=1
                                        ;     Child Loop BB103_13 Depth 2
                                        ;       Child Loop BB103_16 Depth 3
	v_mov_b32_e32 v9, 0
	v_dual_mov_b32 v10, 0 :: v_dual_mov_b32 v11, 0
	v_mov_b32_e32 v12, 0
	s_and_not1_b32 vcc_lo, exec_lo, s25
	s_wait_alu 0xfffe
	s_cbranch_vccnz .LBB103_20
; %bb.10:                               ;   in Loop: Header=BB103_9 Depth=1
	v_ashrrev_i32_e32 v11, 31, v0
	v_add_co_u32 v28, vcc_lo, s6, v0
	v_mov_b32_e32 v9, 0
	v_mov_b32_e32 v10, 0
	s_wait_alu 0xfffd
	v_add_co_ci_u32_e64 v29, null, s7, v11, vcc_lo
	v_mov_b32_e32 v11, 0
	v_mov_b32_e32 v12, 0
	v_ashrrev_i32_e32 v14, 31, v13
	s_mov_b64 s[22:23], s[2:3]
	s_branch .LBB103_13
.LBB103_11:                             ;   in Loop: Header=BB103_13 Depth=2
	s_or_b32 exec_lo, exec_lo, s29
.LBB103_12:                             ;   in Loop: Header=BB103_13 Depth=2
	s_delay_alu instid0(SALU_CYCLE_1)
	s_or_b32 exec_lo, exec_lo, s28
	s_wait_alu 0xfffe
	s_add_nc_u64 s[22:23], s[22:23], 1
	v_add_co_u32 v28, vcc_lo, v28, s20
	s_wait_alu 0xfffe
	v_cmp_ge_i64_e64 s28, s[22:23], s[4:5]
	s_wait_alu 0xfffd
	v_add_co_ci_u32_e64 v29, null, s21, v29, vcc_lo
	s_and_b32 vcc_lo, exec_lo, s28
	s_wait_alu 0xfffe
	s_cbranch_vccnz .LBB103_20
.LBB103_13:                             ;   Parent Loop BB103_9 Depth=1
                                        ; =>  This Loop Header: Depth=2
                                        ;       Child Loop BB103_16 Depth 3
	s_and_saveexec_b32 s28, s0
	s_cbranch_execz .LBB103_12
; %bb.14:                               ;   in Loop: Header=BB103_13 Depth=2
	s_wait_alu 0xfffe
	s_lshl_b64 s[30:31], s[22:23], 2
	s_wait_dscnt 0x2
	v_mad_co_u64_u32 v[17:18], null, s20, s22, v[13:14]
	s_wait_alu 0xfffe
	s_add_nc_u64 s[30:31], s[8:9], s[30:31]
	s_wait_dscnt 0x0
	v_mov_b32_e32 v20, v16
	s_load_b32 s29, s[30:31], 0x0
	s_mul_i32 s30, s21, s22
	s_mul_i32 s31, s20, s23
	v_dual_mov_b32 v30, v23 :: v_dual_mov_b32 v19, v15
	s_wait_alu 0xfffe
	v_add3_u32 v18, s31, s30, v18
	s_wait_kmcnt 0x0
	s_sub_co_i32 s29, s29, s12
	s_delay_alu instid0(SALU_CYCLE_1)
	s_mul_i32 s30, s29, s14
	s_mov_b32 s29, 0
	s_branch .LBB103_16
.LBB103_15:                             ;   in Loop: Header=BB103_16 Depth=3
	s_delay_alu instid0(VALU_DEP_1) | instskip(SKIP_2) | instid1(VALU_DEP_2)
	v_lshlrev_b64_e32 v[21:22], 3, v[21:22]
	v_add_nc_u32_e32 v31, s30, v19
	v_add_nc_u32_e32 v30, s27, v30
	v_ashrrev_i32_e32 v32, 31, v31
	s_delay_alu instid0(VALU_DEP_4) | instskip(SKIP_2) | instid1(VALU_DEP_3)
	v_add_co_u32 v21, vcc_lo, s10, v21
	s_wait_alu 0xfffd
	v_add_co_ci_u32_e64 v22, null, s11, v22, vcc_lo
	v_lshlrev_b64_e32 v[31:32], 4, v[31:32]
	global_load_b64 v[21:22], v[21:22], off
	v_add_co_u32 v31, vcc_lo, s18, v31
	s_wait_alu 0xfffd
	v_add_co_ci_u32_e64 v32, null, s19, v32, vcc_lo
	v_add_co_u32 v19, vcc_lo, v19, 16
	s_wait_alu 0xfffd
	v_add_co_ci_u32_e64 v20, null, 0, v20, vcc_lo
	global_load_b128 v[31:34], v[31:32], off
	v_cmp_le_i32_e32 vcc_lo, s14, v19
	s_or_b32 s29, vcc_lo, s29
	s_wait_loadcnt 0x1
	v_cvt_f64_f32_e32 v[35:36], v21
	v_cvt_f64_f32_e32 v[21:22], v22
	s_wait_loadcnt 0x0
	s_delay_alu instid0(VALU_DEP_2) | instskip(NEXT) | instid1(VALU_DEP_2)
	v_fma_f64 v[11:12], v[35:36], v[31:32], v[11:12]
	v_fma_f64 v[9:10], v[21:22], v[31:32], v[9:10]
	s_delay_alu instid0(VALU_DEP_2) | instskip(NEXT) | instid1(VALU_DEP_2)
	v_fma_f64 v[11:12], -v[21:22], v[33:34], v[11:12]
	v_fma_f64 v[9:10], v[35:36], v[33:34], v[9:10]
	s_and_not1_b32 exec_lo, exec_lo, s29
	s_cbranch_execz .LBB103_11
.LBB103_16:                             ;   Parent Loop BB103_9 Depth=1
                                        ;     Parent Loop BB103_13 Depth=2
                                        ; =>    This Inner Loop Header: Depth=3
	s_and_b32 vcc_lo, exec_lo, s15
	s_wait_alu 0xfffe
	s_cbranch_vccz .LBB103_18
; %bb.17:                               ;   in Loop: Header=BB103_16 Depth=3
	v_ashrrev_i32_e32 v22, 31, v30
	v_add_co_u32 v21, vcc_lo, v17, v30
	s_wait_alu 0xfffd
	s_delay_alu instid0(VALU_DEP_2)
	v_add_co_ci_u32_e64 v22, null, v18, v22, vcc_lo
	s_cbranch_execnz .LBB103_15
	s_branch .LBB103_19
.LBB103_18:                             ;   in Loop: Header=BB103_16 Depth=3
                                        ; implicit-def: $vgpr21_vgpr22
.LBB103_19:                             ;   in Loop: Header=BB103_16 Depth=3
	v_add_co_u32 v21, vcc_lo, v28, v19
	s_wait_alu 0xfffd
	v_add_co_ci_u32_e64 v22, null, v29, v20, vcc_lo
	s_branch .LBB103_15
.LBB103_20:                             ;   in Loop: Header=BB103_9 Depth=1
	s_wait_dscnt 0x3
	ds_bpermute_b32 v17, v24, v11
	s_wait_dscnt 0x3
	ds_bpermute_b32 v18, v24, v12
	;; [unrolled: 2-line block ×4, first 2 shown]
	s_wait_dscnt 0x2
	v_add_f64_e32 v[11:12], v[11:12], v[17:18]
	s_wait_dscnt 0x0
	v_add_f64_e32 v[9:10], v[9:10], v[19:20]
	ds_bpermute_b32 v17, v25, v11
	ds_bpermute_b32 v18, v25, v12
	ds_bpermute_b32 v19, v25, v9
	ds_bpermute_b32 v20, v25, v10
	s_wait_dscnt 0x2
	v_add_f64_e32 v[11:12], v[11:12], v[17:18]
	s_wait_dscnt 0x0
	v_add_f64_e32 v[17:18], v[9:10], v[19:20]
	ds_bpermute_b32 v9, v26, v11
	ds_bpermute_b32 v10, v26, v12
	ds_bpermute_b32 v19, v26, v17
	ds_bpermute_b32 v20, v26, v18
	;; [unrolled: 8-line block ×3, first 2 shown]
	s_and_saveexec_b32 s22, s1
	s_cbranch_execz .LBB103_8
; %bb.21:                               ;   in Loop: Header=BB103_9 Depth=1
	s_wait_dscnt 0x0
	v_add_f64_e32 v[11:12], v[11:12], v[19:20]
	v_add_f64_e32 v[17:18], v[9:10], v[17:18]
	s_delay_alu instid0(VALU_DEP_2) | instskip(SKIP_1) | instid1(VALU_DEP_2)
	v_mul_f64_e64 v[9:10], v[11:12], -v[3:4]
	v_mul_f64_e32 v[11:12], v[1:2], v[11:12]
	v_fma_f64 v[9:10], v[1:2], v[17:18], v[9:10]
	s_delay_alu instid0(VALU_DEP_2) | instskip(SKIP_1) | instid1(VALU_DEP_1)
	v_fma_f64 v[11:12], v[3:4], v[17:18], v[11:12]
	v_add_nc_u32_e32 v17, s26, v13
	v_ashrrev_i32_e32 v18, 31, v17
	s_and_saveexec_b32 s23, s24
	s_wait_alu 0xfffe
	s_xor_b32 s23, exec_lo, s23
	s_cbranch_execz .LBB103_23
; %bb.22:                               ;   in Loop: Header=BB103_9 Depth=1
	v_lshlrev_b64_e32 v[17:18], 4, v[17:18]
	s_delay_alu instid0(VALU_DEP_1) | instskip(SKIP_1) | instid1(VALU_DEP_2)
	v_add_co_u32 v17, vcc_lo, s16, v17
	s_wait_alu 0xfffd
	v_add_co_ci_u32_e64 v18, null, s17, v18, vcc_lo
	global_store_b128 v[17:18], v[9:12], off
                                        ; implicit-def: $vgpr17
                                        ; implicit-def: $vgpr9_vgpr10
.LBB103_23:                             ;   in Loop: Header=BB103_9 Depth=1
	s_wait_alu 0xfffe
	s_and_not1_saveexec_b32 s23, s23
	s_cbranch_execz .LBB103_8
; %bb.24:                               ;   in Loop: Header=BB103_9 Depth=1
	v_lshlrev_b64_e32 v[17:18], 4, v[17:18]
	s_delay_alu instid0(VALU_DEP_1) | instskip(SKIP_1) | instid1(VALU_DEP_2)
	v_add_co_u32 v21, vcc_lo, s16, v17
	s_wait_alu 0xfffd
	v_add_co_ci_u32_e64 v22, null, s17, v18, vcc_lo
	global_load_b128 v[17:20], v[21:22], off
	s_wait_loadcnt 0x0
	v_fma_f64 v[9:10], v[5:6], v[17:18], v[9:10]
	v_fma_f64 v[11:12], v[7:8], v[17:18], v[11:12]
	s_delay_alu instid0(VALU_DEP_2) | instskip(NEXT) | instid1(VALU_DEP_2)
	v_fma_f64 v[9:10], -v[7:8], v[19:20], v[9:10]
	v_fma_f64 v[11:12], v[5:6], v[19:20], v[11:12]
	global_store_b128 v[21:22], v[9:12], off
	s_branch .LBB103_8
.LBB103_25:
	s_endpgm
	.section	.rodata,"a",@progbits
	.p2align	6, 0x0
	.amdhsa_kernel _ZN9rocsparseL22bsrxmvn_general_kernelILj256ELj16E21rocsparse_complex_numIdEliS1_IfES2_S2_EEv20rocsparse_direction_NS_24const_host_device_scalarIT1_EET3_PKS8_PKT2_SD_SA_PKT4_S8_PKT5_S7_PT6_21rocsparse_index_base_b
		.amdhsa_group_segment_fixed_size 0
		.amdhsa_private_segment_fixed_size 0
		.amdhsa_kernarg_size 120
		.amdhsa_user_sgpr_count 2
		.amdhsa_user_sgpr_dispatch_ptr 0
		.amdhsa_user_sgpr_queue_ptr 0
		.amdhsa_user_sgpr_kernarg_segment_ptr 1
		.amdhsa_user_sgpr_dispatch_id 0
		.amdhsa_user_sgpr_private_segment_size 0
		.amdhsa_wavefront_size32 1
		.amdhsa_uses_dynamic_stack 0
		.amdhsa_enable_private_segment 0
		.amdhsa_system_sgpr_workgroup_id_x 1
		.amdhsa_system_sgpr_workgroup_id_y 0
		.amdhsa_system_sgpr_workgroup_id_z 0
		.amdhsa_system_sgpr_workgroup_info 0
		.amdhsa_system_vgpr_workitem_id 0
		.amdhsa_next_free_vgpr 37
		.amdhsa_next_free_sgpr 32
		.amdhsa_reserve_vcc 1
		.amdhsa_float_round_mode_32 0
		.amdhsa_float_round_mode_16_64 0
		.amdhsa_float_denorm_mode_32 3
		.amdhsa_float_denorm_mode_16_64 3
		.amdhsa_fp16_overflow 0
		.amdhsa_workgroup_processor_mode 1
		.amdhsa_memory_ordered 1
		.amdhsa_forward_progress 1
		.amdhsa_inst_pref_size 13
		.amdhsa_round_robin_scheduling 0
		.amdhsa_exception_fp_ieee_invalid_op 0
		.amdhsa_exception_fp_denorm_src 0
		.amdhsa_exception_fp_ieee_div_zero 0
		.amdhsa_exception_fp_ieee_overflow 0
		.amdhsa_exception_fp_ieee_underflow 0
		.amdhsa_exception_fp_ieee_inexact 0
		.amdhsa_exception_int_div_zero 0
	.end_amdhsa_kernel
	.section	.text._ZN9rocsparseL22bsrxmvn_general_kernelILj256ELj16E21rocsparse_complex_numIdEliS1_IfES2_S2_EEv20rocsparse_direction_NS_24const_host_device_scalarIT1_EET3_PKS8_PKT2_SD_SA_PKT4_S8_PKT5_S7_PT6_21rocsparse_index_base_b,"axG",@progbits,_ZN9rocsparseL22bsrxmvn_general_kernelILj256ELj16E21rocsparse_complex_numIdEliS1_IfES2_S2_EEv20rocsparse_direction_NS_24const_host_device_scalarIT1_EET3_PKS8_PKT2_SD_SA_PKT4_S8_PKT5_S7_PT6_21rocsparse_index_base_b,comdat
.Lfunc_end103:
	.size	_ZN9rocsparseL22bsrxmvn_general_kernelILj256ELj16E21rocsparse_complex_numIdEliS1_IfES2_S2_EEv20rocsparse_direction_NS_24const_host_device_scalarIT1_EET3_PKS8_PKT2_SD_SA_PKT4_S8_PKT5_S7_PT6_21rocsparse_index_base_b, .Lfunc_end103-_ZN9rocsparseL22bsrxmvn_general_kernelILj256ELj16E21rocsparse_complex_numIdEliS1_IfES2_S2_EEv20rocsparse_direction_NS_24const_host_device_scalarIT1_EET3_PKS8_PKT2_SD_SA_PKT4_S8_PKT5_S7_PT6_21rocsparse_index_base_b
                                        ; -- End function
	.set _ZN9rocsparseL22bsrxmvn_general_kernelILj256ELj16E21rocsparse_complex_numIdEliS1_IfES2_S2_EEv20rocsparse_direction_NS_24const_host_device_scalarIT1_EET3_PKS8_PKT2_SD_SA_PKT4_S8_PKT5_S7_PT6_21rocsparse_index_base_b.num_vgpr, 37
	.set _ZN9rocsparseL22bsrxmvn_general_kernelILj256ELj16E21rocsparse_complex_numIdEliS1_IfES2_S2_EEv20rocsparse_direction_NS_24const_host_device_scalarIT1_EET3_PKS8_PKT2_SD_SA_PKT4_S8_PKT5_S7_PT6_21rocsparse_index_base_b.num_agpr, 0
	.set _ZN9rocsparseL22bsrxmvn_general_kernelILj256ELj16E21rocsparse_complex_numIdEliS1_IfES2_S2_EEv20rocsparse_direction_NS_24const_host_device_scalarIT1_EET3_PKS8_PKT2_SD_SA_PKT4_S8_PKT5_S7_PT6_21rocsparse_index_base_b.numbered_sgpr, 32
	.set _ZN9rocsparseL22bsrxmvn_general_kernelILj256ELj16E21rocsparse_complex_numIdEliS1_IfES2_S2_EEv20rocsparse_direction_NS_24const_host_device_scalarIT1_EET3_PKS8_PKT2_SD_SA_PKT4_S8_PKT5_S7_PT6_21rocsparse_index_base_b.num_named_barrier, 0
	.set _ZN9rocsparseL22bsrxmvn_general_kernelILj256ELj16E21rocsparse_complex_numIdEliS1_IfES2_S2_EEv20rocsparse_direction_NS_24const_host_device_scalarIT1_EET3_PKS8_PKT2_SD_SA_PKT4_S8_PKT5_S7_PT6_21rocsparse_index_base_b.private_seg_size, 0
	.set _ZN9rocsparseL22bsrxmvn_general_kernelILj256ELj16E21rocsparse_complex_numIdEliS1_IfES2_S2_EEv20rocsparse_direction_NS_24const_host_device_scalarIT1_EET3_PKS8_PKT2_SD_SA_PKT4_S8_PKT5_S7_PT6_21rocsparse_index_base_b.uses_vcc, 1
	.set _ZN9rocsparseL22bsrxmvn_general_kernelILj256ELj16E21rocsparse_complex_numIdEliS1_IfES2_S2_EEv20rocsparse_direction_NS_24const_host_device_scalarIT1_EET3_PKS8_PKT2_SD_SA_PKT4_S8_PKT5_S7_PT6_21rocsparse_index_base_b.uses_flat_scratch, 0
	.set _ZN9rocsparseL22bsrxmvn_general_kernelILj256ELj16E21rocsparse_complex_numIdEliS1_IfES2_S2_EEv20rocsparse_direction_NS_24const_host_device_scalarIT1_EET3_PKS8_PKT2_SD_SA_PKT4_S8_PKT5_S7_PT6_21rocsparse_index_base_b.has_dyn_sized_stack, 0
	.set _ZN9rocsparseL22bsrxmvn_general_kernelILj256ELj16E21rocsparse_complex_numIdEliS1_IfES2_S2_EEv20rocsparse_direction_NS_24const_host_device_scalarIT1_EET3_PKS8_PKT2_SD_SA_PKT4_S8_PKT5_S7_PT6_21rocsparse_index_base_b.has_recursion, 0
	.set _ZN9rocsparseL22bsrxmvn_general_kernelILj256ELj16E21rocsparse_complex_numIdEliS1_IfES2_S2_EEv20rocsparse_direction_NS_24const_host_device_scalarIT1_EET3_PKS8_PKT2_SD_SA_PKT4_S8_PKT5_S7_PT6_21rocsparse_index_base_b.has_indirect_call, 0
	.section	.AMDGPU.csdata,"",@progbits
; Kernel info:
; codeLenInByte = 1576
; TotalNumSgprs: 34
; NumVgprs: 37
; ScratchSize: 0
; MemoryBound: 0
; FloatMode: 240
; IeeeMode: 1
; LDSByteSize: 0 bytes/workgroup (compile time only)
; SGPRBlocks: 0
; VGPRBlocks: 4
; NumSGPRsForWavesPerEU: 34
; NumVGPRsForWavesPerEU: 37
; Occupancy: 16
; WaveLimiterHint : 1
; COMPUTE_PGM_RSRC2:SCRATCH_EN: 0
; COMPUTE_PGM_RSRC2:USER_SGPR: 2
; COMPUTE_PGM_RSRC2:TRAP_HANDLER: 0
; COMPUTE_PGM_RSRC2:TGID_X_EN: 1
; COMPUTE_PGM_RSRC2:TGID_Y_EN: 0
; COMPUTE_PGM_RSRC2:TGID_Z_EN: 0
; COMPUTE_PGM_RSRC2:TIDIG_COMP_CNT: 0
	.section	.text._ZN9rocsparseL22bsrxmvn_general_kernelILj1024ELj32E21rocsparse_complex_numIdEliS1_IfES2_S2_EEv20rocsparse_direction_NS_24const_host_device_scalarIT1_EET3_PKS8_PKT2_SD_SA_PKT4_S8_PKT5_S7_PT6_21rocsparse_index_base_b,"axG",@progbits,_ZN9rocsparseL22bsrxmvn_general_kernelILj1024ELj32E21rocsparse_complex_numIdEliS1_IfES2_S2_EEv20rocsparse_direction_NS_24const_host_device_scalarIT1_EET3_PKS8_PKT2_SD_SA_PKT4_S8_PKT5_S7_PT6_21rocsparse_index_base_b,comdat
	.globl	_ZN9rocsparseL22bsrxmvn_general_kernelILj1024ELj32E21rocsparse_complex_numIdEliS1_IfES2_S2_EEv20rocsparse_direction_NS_24const_host_device_scalarIT1_EET3_PKS8_PKT2_SD_SA_PKT4_S8_PKT5_S7_PT6_21rocsparse_index_base_b ; -- Begin function _ZN9rocsparseL22bsrxmvn_general_kernelILj1024ELj32E21rocsparse_complex_numIdEliS1_IfES2_S2_EEv20rocsparse_direction_NS_24const_host_device_scalarIT1_EET3_PKS8_PKT2_SD_SA_PKT4_S8_PKT5_S7_PT6_21rocsparse_index_base_b
	.p2align	8
	.type	_ZN9rocsparseL22bsrxmvn_general_kernelILj1024ELj32E21rocsparse_complex_numIdEliS1_IfES2_S2_EEv20rocsparse_direction_NS_24const_host_device_scalarIT1_EET3_PKS8_PKT2_SD_SA_PKT4_S8_PKT5_S7_PT6_21rocsparse_index_base_b,@function
_ZN9rocsparseL22bsrxmvn_general_kernelILj1024ELj32E21rocsparse_complex_numIdEliS1_IfES2_S2_EEv20rocsparse_direction_NS_24const_host_device_scalarIT1_EET3_PKS8_PKT2_SD_SA_PKT4_S8_PKT5_S7_PT6_21rocsparse_index_base_b: ; @_ZN9rocsparseL22bsrxmvn_general_kernelILj1024ELj32E21rocsparse_complex_numIdEliS1_IfES2_S2_EEv20rocsparse_direction_NS_24const_host_device_scalarIT1_EET3_PKS8_PKT2_SD_SA_PKT4_S8_PKT5_S7_PT6_21rocsparse_index_base_b
; %bb.0:
	s_clause 0x1
	s_load_b64 s[12:13], s[0:1], 0x70
	s_load_b64 s[2:3], s[0:1], 0x8
	s_add_nc_u64 s[4:5], s[0:1], 8
	s_load_b64 s[6:7], s[0:1], 0x58
	s_wait_kmcnt 0x0
	s_bitcmp1_b32 s13, 0
	s_cselect_b32 s2, s4, s2
	s_cselect_b32 s3, s5, s3
	s_delay_alu instid0(SALU_CYCLE_1)
	v_dual_mov_b32 v1, s2 :: v_dual_mov_b32 v2, s3
	s_add_nc_u64 s[2:3], s[0:1], 0x58
	s_wait_alu 0xfffe
	s_cselect_b32 s2, s2, s6
	s_cselect_b32 s3, s3, s7
	flat_load_b128 v[1:4], v[1:2]
	s_wait_alu 0xfffe
	v_dual_mov_b32 v5, s2 :: v_dual_mov_b32 v6, s3
	flat_load_b128 v[5:8], v[5:6]
	s_wait_loadcnt_dscnt 0x101
	v_cmp_eq_f64_e32 vcc_lo, 0, v[1:2]
	v_cmp_eq_f64_e64 s2, 0, v[3:4]
	s_and_b32 s4, vcc_lo, s2
	s_mov_b32 s2, -1
	s_and_saveexec_b32 s3, s4
	s_cbranch_execz .LBB104_2
; %bb.1:
	s_wait_loadcnt_dscnt 0x0
	v_cmp_neq_f64_e32 vcc_lo, 1.0, v[5:6]
	v_cmp_neq_f64_e64 s2, 0, v[7:8]
	s_wait_alu 0xfffe
	s_or_b32 s2, vcc_lo, s2
	s_wait_alu 0xfffe
	s_or_not1_b32 s2, s2, exec_lo
.LBB104_2:
	s_wait_alu 0xfffe
	s_or_b32 exec_lo, exec_lo, s3
	s_and_saveexec_b32 s3, s2
	s_cbranch_execz .LBB104_25
; %bb.3:
	s_load_b64 s[2:3], s[0:1], 0x20
	s_wait_kmcnt 0x0
	s_cmp_eq_u64 s[2:3], 0
	s_cbranch_scc1 .LBB104_5
; %bb.4:
	s_mov_b32 s4, ttmp9
	s_ashr_i32 s5, ttmp9, 31
	s_delay_alu instid0(SALU_CYCLE_1) | instskip(NEXT) | instid1(SALU_CYCLE_1)
	s_lshl_b64 s[4:5], s[4:5], 2
	s_add_nc_u64 s[2:3], s[2:3], s[4:5]
	s_load_b32 s2, s[2:3], 0x0
	s_wait_kmcnt 0x0
	s_sub_co_i32 s22, s2, s12
	s_branch .LBB104_6
.LBB104_5:
	s_mov_b32 s22, ttmp9
.LBB104_6:
	s_load_b32 s14, s[0:1], 0x48
	v_lshrrev_b32_e32 v13, 5, v0
	s_wait_kmcnt 0x0
	s_delay_alu instid0(VALU_DEP_1)
	v_cmp_gt_i32_e32 vcc_lo, s14, v13
	s_and_b32 exec_lo, exec_lo, vcc_lo
	s_cbranch_execz .LBB104_25
; %bb.7:
	s_clause 0x2
	s_load_b256 s[4:11], s[0:1], 0x28
	s_load_b64 s[16:17], s[0:1], 0x68
	s_load_b64 s[18:19], s[0:1], 0x50
	v_dual_mov_b32 v14, 0 :: v_dual_and_b32 v15, 31, v0
	v_mbcnt_lo_u32_b32 v0, -1, 0
	s_wait_loadcnt_dscnt 0x0
	v_cmp_eq_f64_e32 vcc_lo, 0, v[5:6]
	v_cmp_eq_f64_e64 s2, 0, v[7:8]
	s_ashr_i32 s23, s22, 31
	s_load_b32 s3, s[0:1], 0x0
	v_xor_b32_e32 v9, 16, v0
	v_xor_b32_e32 v10, 8, v0
	s_lshl_b64 s[24:25], s[22:23], 3
	v_xor_b32_e32 v11, 4, v0
	v_xor_b32_e32 v12, 2, v0
	v_cmp_gt_i32_e64 s1, 32, v9
	v_xor_b32_e32 v16, 1, v0
	s_mov_b32 s13, 0
	v_mul_lo_u32 v27, s14, v13
	v_mul_lo_u32 v28, s14, v15
	s_wait_kmcnt 0x0
	s_add_nc_u64 s[4:5], s[4:5], s[24:25]
	v_cndmask_b32_e64 v9, v0, v9, s1
	v_cmp_gt_i32_e64 s1, 32, v10
	s_add_nc_u64 s[24:25], s[6:7], s[24:25]
	s_cmp_eq_u64 s[6:7], 0
	s_add_nc_u64 s[6:7], s[4:5], 8
	s_mov_b32 s15, s13
	s_cselect_b32 s7, s7, s25
	s_cselect_b32 s6, s6, s24
	s_load_b64 s[26:27], s[4:5], 0x0
	s_load_b64 s[28:29], s[6:7], 0x0
	v_cndmask_b32_e64 v10, v0, v10, s1
	v_cmp_gt_i32_e64 s1, 32, v11
	v_cmp_gt_u32_e64 s0, s14, v15
	s_mul_u64 s[20:21], s[14:15], s[14:15]
	s_cmp_lg_u32 s3, 0
	v_lshlrev_b32_e32 v23, 2, v10
	v_cndmask_b32_e64 v11, v0, v11, s1
	v_cmp_gt_i32_e64 s1, 32, v12
	s_cselect_b32 s15, -1, 0
	v_lshlrev_b32_e32 v24, 2, v11
	s_wait_alu 0xf1ff
	v_cndmask_b32_e64 v12, v0, v12, s1
	v_cmp_gt_i32_e64 s1, 32, v16
	s_and_b32 s24, vcc_lo, s2
	v_lshlrev_b32_e32 v25, 2, v12
	v_cndmask_b32_e64 v16, v0, v16, s1
	s_wait_kmcnt 0x0
	v_cmp_lt_i64_e64 s25, s[26:27], s[28:29]
	v_lshlrev_b32_e32 v0, 2, v9
	v_cmp_eq_u32_e64 s1, 31, v15
	s_sub_nc_u64 s[4:5], s[26:27], s[12:13]
	v_lshlrev_b32_e32 v26, 2, v16
	v_mov_b32_e32 v16, v14
	s_sub_nc_u64 s[6:7], s[28:29], s[12:13]
	s_mul_i32 s26, s22, s14
	s_mul_u64 s[2:3], s[4:5], s[20:21]
	s_lshl_b32 s27, s14, 5
	s_branch .LBB104_9
.LBB104_8:                              ;   in Loop: Header=BB104_9 Depth=1
	s_wait_alu 0xfffe
	s_or_b32 exec_lo, exec_lo, s22
	v_add_nc_u32_e32 v13, 32, v13
	v_add_nc_u32_e32 v27, s27, v27
	s_delay_alu instid0(VALU_DEP_2) | instskip(SKIP_1) | instid1(SALU_CYCLE_1)
	v_cmp_le_i32_e32 vcc_lo, s14, v13
	s_or_b32 s13, vcc_lo, s13
	s_and_not1_b32 exec_lo, exec_lo, s13
	s_cbranch_execz .LBB104_25
.LBB104_9:                              ; =>This Loop Header: Depth=1
                                        ;     Child Loop BB104_13 Depth 2
                                        ;       Child Loop BB104_16 Depth 3
	v_mov_b32_e32 v9, 0
	v_dual_mov_b32 v10, 0 :: v_dual_mov_b32 v11, 0
	v_mov_b32_e32 v12, 0
	s_and_not1_b32 vcc_lo, exec_lo, s25
	s_wait_alu 0xfffe
	s_cbranch_vccnz .LBB104_20
; %bb.10:                               ;   in Loop: Header=BB104_9 Depth=1
	s_wait_dscnt 0x3
	v_ashrrev_i32_e32 v17, 31, v27
	v_mov_b32_e32 v9, 0
	v_add_co_u32 v29, vcc_lo, s2, v27
	v_dual_mov_b32 v10, 0 :: v_dual_mov_b32 v11, 0
	v_mov_b32_e32 v12, 0
	s_wait_alu 0xfffd
	v_add_co_ci_u32_e64 v30, null, s3, v17, vcc_lo
	s_mov_b64 s[22:23], s[4:5]
	s_branch .LBB104_13
.LBB104_11:                             ;   in Loop: Header=BB104_13 Depth=2
	s_or_b32 exec_lo, exec_lo, s29
.LBB104_12:                             ;   in Loop: Header=BB104_13 Depth=2
	s_wait_alu 0xfffe
	s_or_b32 exec_lo, exec_lo, s28
	s_add_nc_u64 s[22:23], s[22:23], 1
	v_add_co_u32 v29, vcc_lo, v29, s20
	s_wait_alu 0xfffe
	v_cmp_ge_i64_e64 s28, s[22:23], s[6:7]
	s_wait_alu 0xfffd
	v_add_co_ci_u32_e64 v30, null, s21, v30, vcc_lo
	s_and_b32 vcc_lo, exec_lo, s28
	s_wait_alu 0xfffe
	s_cbranch_vccnz .LBB104_20
.LBB104_13:                             ;   Parent Loop BB104_9 Depth=1
                                        ; =>  This Loop Header: Depth=2
                                        ;       Child Loop BB104_16 Depth 3
	s_and_saveexec_b32 s28, s0
	s_cbranch_execz .LBB104_12
; %bb.14:                               ;   in Loop: Header=BB104_13 Depth=2
	s_wait_alu 0xfffe
	s_lshl_b64 s[30:31], s[22:23], 2
	s_wait_dscnt 0x2
	v_mad_co_u64_u32 v[17:18], null, s20, s22, v[13:14]
	s_wait_alu 0xfffe
	s_add_nc_u64 s[30:31], s[8:9], s[30:31]
	s_wait_dscnt 0x0
	v_dual_mov_b32 v31, v28 :: v_dual_mov_b32 v20, v16
	s_load_b32 s29, s[30:31], 0x0
	s_mul_i32 s30, s21, s22
	s_mul_i32 s31, s20, s23
	v_mov_b32_e32 v19, v15
	s_wait_alu 0xfffe
	v_add3_u32 v18, s31, s30, v18
	s_wait_kmcnt 0x0
	s_sub_co_i32 s29, s29, s12
	s_wait_alu 0xfffe
	s_mul_i32 s30, s29, s14
	s_mov_b32 s29, 0
	s_branch .LBB104_16
.LBB104_15:                             ;   in Loop: Header=BB104_16 Depth=3
	s_delay_alu instid0(VALU_DEP_1) | instskip(SKIP_2) | instid1(VALU_DEP_2)
	v_lshlrev_b64_e32 v[21:22], 3, v[21:22]
	v_add_nc_u32_e32 v32, s30, v19
	v_add_nc_u32_e32 v31, s27, v31
	v_ashrrev_i32_e32 v33, 31, v32
	s_delay_alu instid0(VALU_DEP_4) | instskip(SKIP_2) | instid1(VALU_DEP_3)
	v_add_co_u32 v21, vcc_lo, s10, v21
	s_wait_alu 0xfffd
	v_add_co_ci_u32_e64 v22, null, s11, v22, vcc_lo
	v_lshlrev_b64_e32 v[32:33], 4, v[32:33]
	global_load_b64 v[21:22], v[21:22], off
	v_add_co_u32 v32, vcc_lo, s18, v32
	s_wait_alu 0xfffd
	v_add_co_ci_u32_e64 v33, null, s19, v33, vcc_lo
	v_add_co_u32 v19, vcc_lo, v19, 32
	s_wait_alu 0xfffd
	v_add_co_ci_u32_e64 v20, null, 0, v20, vcc_lo
	global_load_b128 v[32:35], v[32:33], off
	v_cmp_le_i32_e32 vcc_lo, s14, v19
	s_or_b32 s29, vcc_lo, s29
	s_wait_loadcnt 0x1
	v_cvt_f64_f32_e32 v[36:37], v21
	v_cvt_f64_f32_e32 v[21:22], v22
	s_wait_loadcnt 0x0
	s_delay_alu instid0(VALU_DEP_2) | instskip(NEXT) | instid1(VALU_DEP_2)
	v_fma_f64 v[11:12], v[36:37], v[32:33], v[11:12]
	v_fma_f64 v[9:10], v[21:22], v[32:33], v[9:10]
	s_delay_alu instid0(VALU_DEP_2) | instskip(NEXT) | instid1(VALU_DEP_2)
	v_fma_f64 v[11:12], -v[21:22], v[34:35], v[11:12]
	v_fma_f64 v[9:10], v[36:37], v[34:35], v[9:10]
	s_wait_alu 0xfffe
	s_and_not1_b32 exec_lo, exec_lo, s29
	s_cbranch_execz .LBB104_11
.LBB104_16:                             ;   Parent Loop BB104_9 Depth=1
                                        ;     Parent Loop BB104_13 Depth=2
                                        ; =>    This Inner Loop Header: Depth=3
	s_and_b32 vcc_lo, exec_lo, s15
	s_wait_alu 0xfffe
	s_cbranch_vccz .LBB104_18
; %bb.17:                               ;   in Loop: Header=BB104_16 Depth=3
	v_ashrrev_i32_e32 v22, 31, v31
	v_add_co_u32 v21, vcc_lo, v17, v31
	s_wait_alu 0xfffd
	s_delay_alu instid0(VALU_DEP_2)
	v_add_co_ci_u32_e64 v22, null, v18, v22, vcc_lo
	s_cbranch_execnz .LBB104_15
	s_branch .LBB104_19
.LBB104_18:                             ;   in Loop: Header=BB104_16 Depth=3
                                        ; implicit-def: $vgpr21_vgpr22
.LBB104_19:                             ;   in Loop: Header=BB104_16 Depth=3
	v_add_co_u32 v21, vcc_lo, v29, v19
	s_wait_alu 0xfffd
	v_add_co_ci_u32_e64 v22, null, v30, v20, vcc_lo
	s_branch .LBB104_15
.LBB104_20:                             ;   in Loop: Header=BB104_9 Depth=1
	s_wait_dscnt 0x3
	ds_bpermute_b32 v17, v0, v11
	s_wait_dscnt 0x3
	ds_bpermute_b32 v18, v0, v12
	;; [unrolled: 2-line block ×4, first 2 shown]
	s_wait_dscnt 0x2
	v_add_f64_e32 v[11:12], v[11:12], v[17:18]
	s_wait_dscnt 0x0
	v_add_f64_e32 v[9:10], v[9:10], v[19:20]
	ds_bpermute_b32 v17, v23, v11
	ds_bpermute_b32 v18, v23, v12
	ds_bpermute_b32 v19, v23, v9
	ds_bpermute_b32 v20, v23, v10
	s_wait_dscnt 0x2
	v_add_f64_e32 v[11:12], v[11:12], v[17:18]
	s_wait_dscnt 0x0
	v_add_f64_e32 v[9:10], v[9:10], v[19:20]
	ds_bpermute_b32 v17, v24, v11
	ds_bpermute_b32 v18, v24, v12
	ds_bpermute_b32 v19, v24, v9
	ds_bpermute_b32 v20, v24, v10
	;; [unrolled: 8-line block ×4, first 2 shown]
	s_and_saveexec_b32 s22, s1
	s_cbranch_execz .LBB104_8
; %bb.21:                               ;   in Loop: Header=BB104_9 Depth=1
	s_wait_dscnt 0x0
	v_add_f64_e32 v[11:12], v[11:12], v[19:20]
	v_add_f64_e32 v[17:18], v[9:10], v[17:18]
	s_delay_alu instid0(VALU_DEP_2) | instskip(SKIP_1) | instid1(VALU_DEP_2)
	v_mul_f64_e64 v[9:10], v[11:12], -v[3:4]
	v_mul_f64_e32 v[11:12], v[1:2], v[11:12]
	v_fma_f64 v[9:10], v[1:2], v[17:18], v[9:10]
	s_delay_alu instid0(VALU_DEP_2) | instskip(SKIP_2) | instid1(VALU_DEP_1)
	v_fma_f64 v[11:12], v[3:4], v[17:18], v[11:12]
	s_wait_alu 0xfffe
	v_add_nc_u32_e32 v17, s26, v13
	v_ashrrev_i32_e32 v18, 31, v17
	s_and_saveexec_b32 s23, s24
	s_wait_alu 0xfffe
	s_xor_b32 s23, exec_lo, s23
	s_cbranch_execz .LBB104_23
; %bb.22:                               ;   in Loop: Header=BB104_9 Depth=1
	v_lshlrev_b64_e32 v[17:18], 4, v[17:18]
	s_delay_alu instid0(VALU_DEP_1) | instskip(SKIP_1) | instid1(VALU_DEP_2)
	v_add_co_u32 v17, vcc_lo, s16, v17
	s_wait_alu 0xfffd
	v_add_co_ci_u32_e64 v18, null, s17, v18, vcc_lo
	global_store_b128 v[17:18], v[9:12], off
                                        ; implicit-def: $vgpr17
                                        ; implicit-def: $vgpr9_vgpr10
.LBB104_23:                             ;   in Loop: Header=BB104_9 Depth=1
	s_wait_alu 0xfffe
	s_and_not1_saveexec_b32 s23, s23
	s_cbranch_execz .LBB104_8
; %bb.24:                               ;   in Loop: Header=BB104_9 Depth=1
	v_lshlrev_b64_e32 v[17:18], 4, v[17:18]
	s_delay_alu instid0(VALU_DEP_1) | instskip(SKIP_1) | instid1(VALU_DEP_2)
	v_add_co_u32 v21, vcc_lo, s16, v17
	s_wait_alu 0xfffd
	v_add_co_ci_u32_e64 v22, null, s17, v18, vcc_lo
	global_load_b128 v[17:20], v[21:22], off
	s_wait_loadcnt 0x0
	v_fma_f64 v[9:10], v[5:6], v[17:18], v[9:10]
	v_fma_f64 v[11:12], v[7:8], v[17:18], v[11:12]
	s_delay_alu instid0(VALU_DEP_2) | instskip(NEXT) | instid1(VALU_DEP_2)
	v_fma_f64 v[9:10], -v[7:8], v[19:20], v[9:10]
	v_fma_f64 v[11:12], v[5:6], v[19:20], v[11:12]
	global_store_b128 v[21:22], v[9:12], off
	s_branch .LBB104_8
.LBB104_25:
	s_endpgm
	.section	.rodata,"a",@progbits
	.p2align	6, 0x0
	.amdhsa_kernel _ZN9rocsparseL22bsrxmvn_general_kernelILj1024ELj32E21rocsparse_complex_numIdEliS1_IfES2_S2_EEv20rocsparse_direction_NS_24const_host_device_scalarIT1_EET3_PKS8_PKT2_SD_SA_PKT4_S8_PKT5_S7_PT6_21rocsparse_index_base_b
		.amdhsa_group_segment_fixed_size 0
		.amdhsa_private_segment_fixed_size 0
		.amdhsa_kernarg_size 120
		.amdhsa_user_sgpr_count 2
		.amdhsa_user_sgpr_dispatch_ptr 0
		.amdhsa_user_sgpr_queue_ptr 0
		.amdhsa_user_sgpr_kernarg_segment_ptr 1
		.amdhsa_user_sgpr_dispatch_id 0
		.amdhsa_user_sgpr_private_segment_size 0
		.amdhsa_wavefront_size32 1
		.amdhsa_uses_dynamic_stack 0
		.amdhsa_enable_private_segment 0
		.amdhsa_system_sgpr_workgroup_id_x 1
		.amdhsa_system_sgpr_workgroup_id_y 0
		.amdhsa_system_sgpr_workgroup_id_z 0
		.amdhsa_system_sgpr_workgroup_info 0
		.amdhsa_system_vgpr_workitem_id 0
		.amdhsa_next_free_vgpr 38
		.amdhsa_next_free_sgpr 32
		.amdhsa_reserve_vcc 1
		.amdhsa_float_round_mode_32 0
		.amdhsa_float_round_mode_16_64 0
		.amdhsa_float_denorm_mode_32 3
		.amdhsa_float_denorm_mode_16_64 3
		.amdhsa_fp16_overflow 0
		.amdhsa_workgroup_processor_mode 1
		.amdhsa_memory_ordered 1
		.amdhsa_forward_progress 1
		.amdhsa_inst_pref_size 13
		.amdhsa_round_robin_scheduling 0
		.amdhsa_exception_fp_ieee_invalid_op 0
		.amdhsa_exception_fp_denorm_src 0
		.amdhsa_exception_fp_ieee_div_zero 0
		.amdhsa_exception_fp_ieee_overflow 0
		.amdhsa_exception_fp_ieee_underflow 0
		.amdhsa_exception_fp_ieee_inexact 0
		.amdhsa_exception_int_div_zero 0
	.end_amdhsa_kernel
	.section	.text._ZN9rocsparseL22bsrxmvn_general_kernelILj1024ELj32E21rocsparse_complex_numIdEliS1_IfES2_S2_EEv20rocsparse_direction_NS_24const_host_device_scalarIT1_EET3_PKS8_PKT2_SD_SA_PKT4_S8_PKT5_S7_PT6_21rocsparse_index_base_b,"axG",@progbits,_ZN9rocsparseL22bsrxmvn_general_kernelILj1024ELj32E21rocsparse_complex_numIdEliS1_IfES2_S2_EEv20rocsparse_direction_NS_24const_host_device_scalarIT1_EET3_PKS8_PKT2_SD_SA_PKT4_S8_PKT5_S7_PT6_21rocsparse_index_base_b,comdat
.Lfunc_end104:
	.size	_ZN9rocsparseL22bsrxmvn_general_kernelILj1024ELj32E21rocsparse_complex_numIdEliS1_IfES2_S2_EEv20rocsparse_direction_NS_24const_host_device_scalarIT1_EET3_PKS8_PKT2_SD_SA_PKT4_S8_PKT5_S7_PT6_21rocsparse_index_base_b, .Lfunc_end104-_ZN9rocsparseL22bsrxmvn_general_kernelILj1024ELj32E21rocsparse_complex_numIdEliS1_IfES2_S2_EEv20rocsparse_direction_NS_24const_host_device_scalarIT1_EET3_PKS8_PKT2_SD_SA_PKT4_S8_PKT5_S7_PT6_21rocsparse_index_base_b
                                        ; -- End function
	.set _ZN9rocsparseL22bsrxmvn_general_kernelILj1024ELj32E21rocsparse_complex_numIdEliS1_IfES2_S2_EEv20rocsparse_direction_NS_24const_host_device_scalarIT1_EET3_PKS8_PKT2_SD_SA_PKT4_S8_PKT5_S7_PT6_21rocsparse_index_base_b.num_vgpr, 38
	.set _ZN9rocsparseL22bsrxmvn_general_kernelILj1024ELj32E21rocsparse_complex_numIdEliS1_IfES2_S2_EEv20rocsparse_direction_NS_24const_host_device_scalarIT1_EET3_PKS8_PKT2_SD_SA_PKT4_S8_PKT5_S7_PT6_21rocsparse_index_base_b.num_agpr, 0
	.set _ZN9rocsparseL22bsrxmvn_general_kernelILj1024ELj32E21rocsparse_complex_numIdEliS1_IfES2_S2_EEv20rocsparse_direction_NS_24const_host_device_scalarIT1_EET3_PKS8_PKT2_SD_SA_PKT4_S8_PKT5_S7_PT6_21rocsparse_index_base_b.numbered_sgpr, 32
	.set _ZN9rocsparseL22bsrxmvn_general_kernelILj1024ELj32E21rocsparse_complex_numIdEliS1_IfES2_S2_EEv20rocsparse_direction_NS_24const_host_device_scalarIT1_EET3_PKS8_PKT2_SD_SA_PKT4_S8_PKT5_S7_PT6_21rocsparse_index_base_b.num_named_barrier, 0
	.set _ZN9rocsparseL22bsrxmvn_general_kernelILj1024ELj32E21rocsparse_complex_numIdEliS1_IfES2_S2_EEv20rocsparse_direction_NS_24const_host_device_scalarIT1_EET3_PKS8_PKT2_SD_SA_PKT4_S8_PKT5_S7_PT6_21rocsparse_index_base_b.private_seg_size, 0
	.set _ZN9rocsparseL22bsrxmvn_general_kernelILj1024ELj32E21rocsparse_complex_numIdEliS1_IfES2_S2_EEv20rocsparse_direction_NS_24const_host_device_scalarIT1_EET3_PKS8_PKT2_SD_SA_PKT4_S8_PKT5_S7_PT6_21rocsparse_index_base_b.uses_vcc, 1
	.set _ZN9rocsparseL22bsrxmvn_general_kernelILj1024ELj32E21rocsparse_complex_numIdEliS1_IfES2_S2_EEv20rocsparse_direction_NS_24const_host_device_scalarIT1_EET3_PKS8_PKT2_SD_SA_PKT4_S8_PKT5_S7_PT6_21rocsparse_index_base_b.uses_flat_scratch, 0
	.set _ZN9rocsparseL22bsrxmvn_general_kernelILj1024ELj32E21rocsparse_complex_numIdEliS1_IfES2_S2_EEv20rocsparse_direction_NS_24const_host_device_scalarIT1_EET3_PKS8_PKT2_SD_SA_PKT4_S8_PKT5_S7_PT6_21rocsparse_index_base_b.has_dyn_sized_stack, 0
	.set _ZN9rocsparseL22bsrxmvn_general_kernelILj1024ELj32E21rocsparse_complex_numIdEliS1_IfES2_S2_EEv20rocsparse_direction_NS_24const_host_device_scalarIT1_EET3_PKS8_PKT2_SD_SA_PKT4_S8_PKT5_S7_PT6_21rocsparse_index_base_b.has_recursion, 0
	.set _ZN9rocsparseL22bsrxmvn_general_kernelILj1024ELj32E21rocsparse_complex_numIdEliS1_IfES2_S2_EEv20rocsparse_direction_NS_24const_host_device_scalarIT1_EET3_PKS8_PKT2_SD_SA_PKT4_S8_PKT5_S7_PT6_21rocsparse_index_base_b.has_indirect_call, 0
	.section	.AMDGPU.csdata,"",@progbits
; Kernel info:
; codeLenInByte = 1648
; TotalNumSgprs: 34
; NumVgprs: 38
; ScratchSize: 0
; MemoryBound: 0
; FloatMode: 240
; IeeeMode: 1
; LDSByteSize: 0 bytes/workgroup (compile time only)
; SGPRBlocks: 0
; VGPRBlocks: 4
; NumSGPRsForWavesPerEU: 34
; NumVGPRsForWavesPerEU: 38
; Occupancy: 16
; WaveLimiterHint : 1
; COMPUTE_PGM_RSRC2:SCRATCH_EN: 0
; COMPUTE_PGM_RSRC2:USER_SGPR: 2
; COMPUTE_PGM_RSRC2:TRAP_HANDLER: 0
; COMPUTE_PGM_RSRC2:TGID_X_EN: 1
; COMPUTE_PGM_RSRC2:TGID_Y_EN: 0
; COMPUTE_PGM_RSRC2:TGID_Z_EN: 0
; COMPUTE_PGM_RSRC2:TIDIG_COMP_CNT: 0
	.section	.text._ZN9rocsparseL22bsrxmvn_general_kernelILj64ELj8E21rocsparse_complex_numIdEllS1_IfES2_S2_EEv20rocsparse_direction_NS_24const_host_device_scalarIT1_EET3_PKS8_PKT2_SD_SA_PKT4_S8_PKT5_S7_PT6_21rocsparse_index_base_b,"axG",@progbits,_ZN9rocsparseL22bsrxmvn_general_kernelILj64ELj8E21rocsparse_complex_numIdEllS1_IfES2_S2_EEv20rocsparse_direction_NS_24const_host_device_scalarIT1_EET3_PKS8_PKT2_SD_SA_PKT4_S8_PKT5_S7_PT6_21rocsparse_index_base_b,comdat
	.globl	_ZN9rocsparseL22bsrxmvn_general_kernelILj64ELj8E21rocsparse_complex_numIdEllS1_IfES2_S2_EEv20rocsparse_direction_NS_24const_host_device_scalarIT1_EET3_PKS8_PKT2_SD_SA_PKT4_S8_PKT5_S7_PT6_21rocsparse_index_base_b ; -- Begin function _ZN9rocsparseL22bsrxmvn_general_kernelILj64ELj8E21rocsparse_complex_numIdEllS1_IfES2_S2_EEv20rocsparse_direction_NS_24const_host_device_scalarIT1_EET3_PKS8_PKT2_SD_SA_PKT4_S8_PKT5_S7_PT6_21rocsparse_index_base_b
	.p2align	8
	.type	_ZN9rocsparseL22bsrxmvn_general_kernelILj64ELj8E21rocsparse_complex_numIdEllS1_IfES2_S2_EEv20rocsparse_direction_NS_24const_host_device_scalarIT1_EET3_PKS8_PKT2_SD_SA_PKT4_S8_PKT5_S7_PT6_21rocsparse_index_base_b,@function
_ZN9rocsparseL22bsrxmvn_general_kernelILj64ELj8E21rocsparse_complex_numIdEllS1_IfES2_S2_EEv20rocsparse_direction_NS_24const_host_device_scalarIT1_EET3_PKS8_PKT2_SD_SA_PKT4_S8_PKT5_S7_PT6_21rocsparse_index_base_b: ; @_ZN9rocsparseL22bsrxmvn_general_kernelILj64ELj8E21rocsparse_complex_numIdEllS1_IfES2_S2_EEv20rocsparse_direction_NS_24const_host_device_scalarIT1_EET3_PKS8_PKT2_SD_SA_PKT4_S8_PKT5_S7_PT6_21rocsparse_index_base_b
; %bb.0:
	s_clause 0x1
	s_load_b64 s[12:13], s[0:1], 0x70
	s_load_b64 s[2:3], s[0:1], 0x8
	s_add_nc_u64 s[4:5], s[0:1], 8
	s_load_b64 s[6:7], s[0:1], 0x58
	s_wait_kmcnt 0x0
	s_bitcmp1_b32 s13, 0
	s_cselect_b32 s2, s4, s2
	s_cselect_b32 s3, s5, s3
	s_delay_alu instid0(SALU_CYCLE_1)
	v_dual_mov_b32 v1, s2 :: v_dual_mov_b32 v2, s3
	s_add_nc_u64 s[2:3], s[0:1], 0x58
	s_wait_alu 0xfffe
	s_cselect_b32 s2, s2, s6
	s_cselect_b32 s3, s3, s7
	flat_load_b128 v[1:4], v[1:2]
	s_wait_alu 0xfffe
	v_dual_mov_b32 v5, s2 :: v_dual_mov_b32 v6, s3
	flat_load_b128 v[5:8], v[5:6]
	s_wait_loadcnt_dscnt 0x101
	v_cmp_eq_f64_e32 vcc_lo, 0, v[1:2]
	v_cmp_eq_f64_e64 s2, 0, v[3:4]
	s_and_b32 s4, vcc_lo, s2
	s_mov_b32 s2, -1
	s_and_saveexec_b32 s3, s4
	s_cbranch_execz .LBB105_2
; %bb.1:
	s_wait_loadcnt_dscnt 0x0
	v_cmp_neq_f64_e32 vcc_lo, 1.0, v[5:6]
	v_cmp_neq_f64_e64 s2, 0, v[7:8]
	s_wait_alu 0xfffe
	s_or_b32 s2, vcc_lo, s2
	s_wait_alu 0xfffe
	s_or_not1_b32 s2, s2, exec_lo
.LBB105_2:
	s_wait_alu 0xfffe
	s_or_b32 exec_lo, exec_lo, s3
	s_and_saveexec_b32 s3, s2
	s_cbranch_execz .LBB105_24
; %bb.3:
	s_load_b64 s[2:3], s[0:1], 0x20
	s_mov_b32 s17, 0
	s_mov_b32 s16, ttmp9
	s_mov_b32 s13, s17
	s_wait_kmcnt 0x0
	s_cmp_eq_u64 s[2:3], 0
	s_cbranch_scc1 .LBB105_5
; %bb.4:
	s_lshl_b64 s[4:5], s[16:17], 3
	s_delay_alu instid0(SALU_CYCLE_1)
	s_add_nc_u64 s[2:3], s[2:3], s[4:5]
	s_load_b64 s[2:3], s[2:3], 0x0
	s_wait_kmcnt 0x0
	s_sub_nc_u64 s[16:17], s[2:3], s[12:13]
.LBB105_5:
	s_load_b64 s[14:15], s[0:1], 0x48
	v_lshrrev_b32_e32 v13, 3, v0
	v_mov_b32_e32 v14, 0
	s_wait_kmcnt 0x0
	s_delay_alu instid0(VALU_DEP_1)
	v_cmp_gt_i64_e32 vcc_lo, s[14:15], v[13:14]
	s_and_b32 exec_lo, exec_lo, vcc_lo
	s_cbranch_execz .LBB105_24
; %bb.6:
	s_clause 0x2
	s_load_b256 s[4:11], s[0:1], 0x28
	s_load_b64 s[18:19], s[0:1], 0x50
	s_load_b64 s[20:21], s[0:1], 0x68
	s_lshl_b64 s[22:23], s[16:17], 3
	v_dual_mov_b32 v16, v14 :: v_dual_and_b32 v15, 7, v0
	v_mbcnt_lo_u32_b32 v0, -1, 0
	s_wait_loadcnt_dscnt 0x0
	v_cmp_eq_f64_e32 vcc_lo, 0, v[5:6]
	v_cmp_eq_f64_e64 s2, 0, v[7:8]
	v_lshlrev_b32_e32 v12, 4, v15
	s_load_b32 s26, s[0:1], 0x0
	v_xor_b32_e32 v9, 4, v0
	v_xor_b32_e32 v10, 2, v0
	;; [unrolled: 1-line block ×3, first 2 shown]
	s_mul_u64 s[16:17], s[16:17], s[14:15]
	v_cmp_gt_u64_e64 s0, s[14:15], v[15:16]
	v_cmp_gt_i32_e64 s3, 32, v9
	v_cmp_eq_u32_e64 s1, 7, v15
	s_mov_b32 s28, 0
	s_wait_kmcnt 0x0
	s_add_nc_u64 s[4:5], s[4:5], s[22:23]
	s_wait_alu 0xf1ff
	v_cndmask_b32_e64 v9, v0, v9, s3
	s_load_b64 s[24:25], s[4:5], 0x0
	v_cmp_gt_i32_e64 s3, 32, v10
	s_add_nc_u64 s[22:23], s[6:7], s[22:23]
	s_cmp_eq_u64 s[6:7], 0
	s_add_nc_u64 s[4:5], s[4:5], 8
	s_wait_alu 0xf1ff
	v_cndmask_b32_e64 v10, v0, v10, s3
	v_cmp_gt_i32_e64 s3, 32, v11
	s_cselect_b32 s5, s5, s23
	s_cselect_b32 s4, s4, s22
	s_cmp_lg_u32 s26, 0
	s_load_b64 s[22:23], s[4:5], 0x0
	v_cndmask_b32_e64 v11, v0, v11, s3
	v_lshlrev_b32_e32 v0, 2, v9
	v_lshlrev_b32_e32 v29, 2, v10
	s_cselect_b32 s29, -1, 0
	s_delay_alu instid0(VALU_DEP_3)
	v_lshlrev_b32_e32 v30, 2, v11
	v_add_co_u32 v11, s3, s18, v12
	s_wait_kmcnt 0x0
	s_sub_nc_u64 s[4:5], s[24:25], s[12:13]
	s_wait_alu 0xf1ff
	v_add_co_ci_u32_e64 v12, null, s19, 0, s3
	v_mad_co_u64_u32 v[9:10], null, s14, s4, v[13:14]
	s_mul_i32 s3, s15, s4
	s_mul_i32 s6, s14, s5
	s_lshl_b64 s[18:19], s[14:15], 4
	v_cmp_lt_i64_e64 s30, s[24:25], s[22:23]
	s_wait_alu 0xfffe
	v_add3_u32 v10, s6, s3, v10
	v_mul_lo_u32 v21, s15, v9
	v_mad_co_u64_u32 v[17:18], null, s14, v9, 0
	v_add_co_u32 v19, s3, v11, 8
	s_delay_alu instid0(VALU_DEP_4)
	v_mul_lo_u32 v9, s14, v10
	s_wait_alu 0xf1ff
	v_add_co_ci_u32_e64 v20, null, 0, v12, s3
	s_lshl_b64 s[6:7], s[16:17], 4
	s_and_b32 s3, vcc_lo, s2
	s_wait_alu 0xfffe
	s_add_nc_u64 s[6:7], s[20:21], s[6:7]
	s_sub_nc_u64 s[16:17], s[22:23], s[12:13]
	s_lshl_b64 s[20:21], s[14:15], 3
	v_add3_u32 v18, v18, v9, v21
	s_mul_u64 s[22:23], s[14:15], s[14:15]
	s_branch .LBB105_8
.LBB105_7:                              ;   in Loop: Header=BB105_8 Depth=1
	s_wait_alu 0xfffe
	s_or_b32 exec_lo, exec_lo, s2
	v_add_co_u32 v13, vcc_lo, v13, 8
	s_wait_alu 0xfffd
	v_add_co_ci_u32_e64 v14, null, 0, v14, vcc_lo
	v_add_co_u32 v17, s2, v17, s20
	s_wait_alu 0xf1ff
	v_add_co_ci_u32_e64 v18, null, s21, v18, s2
	s_delay_alu instid0(VALU_DEP_3) | instskip(SKIP_1) | instid1(SALU_CYCLE_1)
	v_cmp_le_i64_e32 vcc_lo, s[14:15], v[13:14]
	s_or_b32 s28, vcc_lo, s28
	s_and_not1_b32 exec_lo, exec_lo, s28
	s_cbranch_execz .LBB105_24
.LBB105_8:                              ; =>This Loop Header: Depth=1
                                        ;     Child Loop BB105_12 Depth 2
                                        ;       Child Loop BB105_15 Depth 3
	v_mov_b32_e32 v9, 0
	v_dual_mov_b32 v10, 0 :: v_dual_mov_b32 v11, 0
	v_mov_b32_e32 v12, 0
	s_and_not1_b32 vcc_lo, exec_lo, s30
	s_wait_alu 0xfffe
	s_cbranch_vccnz .LBB105_19
; %bb.9:                                ;   in Loop: Header=BB105_8 Depth=1
	v_mov_b32_e32 v9, 0
	v_dual_mov_b32 v10, 0 :: v_dual_mov_b32 v11, 0
	v_mov_b32_e32 v12, 0
	s_wait_dscnt 0x2
	v_dual_mov_b32 v22, v18 :: v_dual_mov_b32 v21, v17
	s_mov_b64 s[24:25], s[4:5]
	s_branch .LBB105_12
.LBB105_10:                             ;   in Loop: Header=BB105_12 Depth=2
	s_or_b32 exec_lo, exec_lo, s33
.LBB105_11:                             ;   in Loop: Header=BB105_12 Depth=2
	s_delay_alu instid0(SALU_CYCLE_1)
	s_or_b32 exec_lo, exec_lo, s31
	s_wait_alu 0xfffe
	s_add_nc_u64 s[24:25], s[24:25], 1
	v_add_co_u32 v21, vcc_lo, v21, s22
	s_wait_alu 0xfffe
	v_cmp_ge_i64_e64 s2, s[24:25], s[16:17]
	s_wait_alu 0xfffd
	v_add_co_ci_u32_e64 v22, null, s23, v22, vcc_lo
	s_and_b32 vcc_lo, exec_lo, s2
	s_wait_alu 0xfffe
	s_cbranch_vccnz .LBB105_19
.LBB105_12:                             ;   Parent Loop BB105_8 Depth=1
                                        ; =>  This Loop Header: Depth=2
                                        ;       Child Loop BB105_15 Depth 3
	s_and_saveexec_b32 s31, s0
	s_cbranch_execz .LBB105_11
; %bb.13:                               ;   in Loop: Header=BB105_12 Depth=2
	s_wait_alu 0xfffe
	s_lshl_b64 s[26:27], s[24:25], 3
	v_dual_mov_b32 v26, v16 :: v_dual_mov_b32 v25, v15
	s_wait_alu 0xfffe
	s_add_nc_u64 s[26:27], s[8:9], s[26:27]
	s_mov_b32 s33, 0
	s_load_b64 s[26:27], s[26:27], 0x0
	s_wait_kmcnt 0x0
	s_sub_nc_u64 s[26:27], s[26:27], s[12:13]
	s_wait_dscnt 0x0
	s_wait_alu 0xfffe
	v_mad_co_u64_u32 v[23:24], null, s18, s26, v[19:20]
	s_mul_i32 s2, s19, s26
	s_mul_i32 s26, s18, s27
	s_wait_alu 0xfffe
	v_add3_u32 v24, s26, s2, v24
	s_mul_u64 s[26:27], s[24:25], s[14:15]
	s_branch .LBB105_15
.LBB105_14:                             ;   in Loop: Header=BB105_15 Depth=3
	s_delay_alu instid0(VALU_DEP_1) | instskip(NEXT) | instid1(VALU_DEP_1)
	v_lshlrev_b64_e32 v[27:28], 3, v[27:28]
	v_add_co_u32 v27, vcc_lo, s10, v27
	s_wait_alu 0xfffd
	s_delay_alu instid0(VALU_DEP_2)
	v_add_co_ci_u32_e64 v28, null, s11, v28, vcc_lo
	v_add_co_u32 v25, vcc_lo, v25, 8
	s_wait_alu 0xfffd
	v_add_co_ci_u32_e64 v26, null, 0, v26, vcc_lo
	global_load_b64 v[27:28], v[27:28], off
	global_load_b128 v[31:34], v[23:24], off offset:-8
	v_add_co_u32 v23, s2, 0x80, v23
	v_cmp_le_i64_e32 vcc_lo, s[14:15], v[25:26]
	s_wait_alu 0xf1ff
	v_add_co_ci_u32_e64 v24, null, 0, v24, s2
	s_or_b32 s33, vcc_lo, s33
	s_wait_loadcnt 0x1
	v_cvt_f64_f32_e32 v[35:36], v27
	v_cvt_f64_f32_e32 v[27:28], v28
	s_wait_loadcnt 0x0
	s_delay_alu instid0(VALU_DEP_2) | instskip(NEXT) | instid1(VALU_DEP_2)
	v_fma_f64 v[11:12], v[35:36], v[31:32], v[11:12]
	v_fma_f64 v[9:10], v[27:28], v[31:32], v[9:10]
	s_delay_alu instid0(VALU_DEP_2) | instskip(NEXT) | instid1(VALU_DEP_2)
	v_fma_f64 v[11:12], -v[27:28], v[33:34], v[11:12]
	v_fma_f64 v[9:10], v[35:36], v[33:34], v[9:10]
	s_and_not1_b32 exec_lo, exec_lo, s33
	s_cbranch_execz .LBB105_10
.LBB105_15:                             ;   Parent Loop BB105_8 Depth=1
                                        ;     Parent Loop BB105_12 Depth=2
                                        ; =>    This Inner Loop Header: Depth=3
	s_and_b32 vcc_lo, exec_lo, s29
	s_wait_alu 0xfffe
	s_cbranch_vccz .LBB105_17
; %bb.16:                               ;   in Loop: Header=BB105_15 Depth=3
	v_add_co_u32 v27, vcc_lo, v25, s26
	s_wait_alu 0xfffd
	v_add_co_ci_u32_e64 v28, null, s27, v26, vcc_lo
	s_delay_alu instid0(VALU_DEP_2) | instskip(NEXT) | instid1(VALU_DEP_2)
	v_mul_lo_u32 v31, v27, s15
	v_mul_lo_u32 v32, v28, s14
	v_mad_co_u64_u32 v[27:28], null, v27, s14, v[13:14]
	s_delay_alu instid0(VALU_DEP_1)
	v_add3_u32 v28, v32, v28, v31
	s_cbranch_execnz .LBB105_14
	s_branch .LBB105_18
.LBB105_17:                             ;   in Loop: Header=BB105_15 Depth=3
                                        ; implicit-def: $vgpr27_vgpr28
.LBB105_18:                             ;   in Loop: Header=BB105_15 Depth=3
	v_add_co_u32 v27, vcc_lo, v21, v25
	s_wait_alu 0xfffd
	v_add_co_ci_u32_e64 v28, null, v22, v26, vcc_lo
	s_branch .LBB105_14
.LBB105_19:                             ;   in Loop: Header=BB105_8 Depth=1
	s_wait_dscnt 0x3
	ds_bpermute_b32 v21, v0, v11
	s_wait_dscnt 0x3
	ds_bpermute_b32 v22, v0, v12
	;; [unrolled: 2-line block ×4, first 2 shown]
	s_wait_dscnt 0x2
	v_add_f64_e32 v[11:12], v[11:12], v[21:22]
	s_wait_dscnt 0x0
	v_add_f64_e32 v[21:22], v[9:10], v[23:24]
	ds_bpermute_b32 v9, v29, v11
	ds_bpermute_b32 v10, v29, v12
	;; [unrolled: 1-line block ×4, first 2 shown]
	s_wait_dscnt 0x2
	v_add_f64_e32 v[9:10], v[11:12], v[9:10]
	s_wait_dscnt 0x0
	v_add_f64_e32 v[11:12], v[21:22], v[23:24]
	ds_bpermute_b32 v21, v30, v9
	ds_bpermute_b32 v22, v30, v10
	ds_bpermute_b32 v23, v30, v11
	ds_bpermute_b32 v24, v30, v12
	s_and_saveexec_b32 s2, s1
	s_cbranch_execz .LBB105_7
; %bb.20:                               ;   in Loop: Header=BB105_8 Depth=1
	s_wait_dscnt 0x0
	v_add_f64_e32 v[11:12], v[11:12], v[23:24]
	v_add_f64_e32 v[21:22], v[9:10], v[21:22]
	s_delay_alu instid0(VALU_DEP_2) | instskip(SKIP_1) | instid1(VALU_DEP_2)
	v_mul_f64_e64 v[9:10], v[11:12], -v[3:4]
	v_mul_f64_e32 v[11:12], v[1:2], v[11:12]
	v_fma_f64 v[9:10], v[1:2], v[21:22], v[9:10]
	s_delay_alu instid0(VALU_DEP_2)
	v_fma_f64 v[11:12], v[3:4], v[21:22], v[11:12]
	v_lshlrev_b64_e32 v[21:22], 4, v[13:14]
	s_and_saveexec_b32 s24, s3
	s_wait_alu 0xfffe
	s_xor_b32 s24, exec_lo, s24
	s_cbranch_execz .LBB105_22
; %bb.21:                               ;   in Loop: Header=BB105_8 Depth=1
	s_delay_alu instid0(VALU_DEP_1)
	v_add_co_u32 v21, vcc_lo, s6, v21
	s_wait_alu 0xfffd
	v_add_co_ci_u32_e64 v22, null, s7, v22, vcc_lo
	global_store_b128 v[21:22], v[9:12], off
                                        ; implicit-def: $vgpr21_vgpr22
                                        ; implicit-def: $vgpr9_vgpr10
.LBB105_22:                             ;   in Loop: Header=BB105_8 Depth=1
	s_wait_alu 0xfffe
	s_and_not1_saveexec_b32 s24, s24
	s_cbranch_execz .LBB105_7
; %bb.23:                               ;   in Loop: Header=BB105_8 Depth=1
	v_add_co_u32 v25, vcc_lo, s6, v21
	s_wait_alu 0xfffd
	v_add_co_ci_u32_e64 v26, null, s7, v22, vcc_lo
	global_load_b128 v[21:24], v[25:26], off
	s_wait_loadcnt 0x0
	v_fma_f64 v[9:10], v[5:6], v[21:22], v[9:10]
	v_fma_f64 v[11:12], v[7:8], v[21:22], v[11:12]
	s_delay_alu instid0(VALU_DEP_2) | instskip(NEXT) | instid1(VALU_DEP_2)
	v_fma_f64 v[9:10], -v[7:8], v[23:24], v[9:10]
	v_fma_f64 v[11:12], v[5:6], v[23:24], v[11:12]
	global_store_b128 v[25:26], v[9:12], off
	s_branch .LBB105_7
.LBB105_24:
	s_endpgm
	.section	.rodata,"a",@progbits
	.p2align	6, 0x0
	.amdhsa_kernel _ZN9rocsparseL22bsrxmvn_general_kernelILj64ELj8E21rocsparse_complex_numIdEllS1_IfES2_S2_EEv20rocsparse_direction_NS_24const_host_device_scalarIT1_EET3_PKS8_PKT2_SD_SA_PKT4_S8_PKT5_S7_PT6_21rocsparse_index_base_b
		.amdhsa_group_segment_fixed_size 0
		.amdhsa_private_segment_fixed_size 0
		.amdhsa_kernarg_size 120
		.amdhsa_user_sgpr_count 2
		.amdhsa_user_sgpr_dispatch_ptr 0
		.amdhsa_user_sgpr_queue_ptr 0
		.amdhsa_user_sgpr_kernarg_segment_ptr 1
		.amdhsa_user_sgpr_dispatch_id 0
		.amdhsa_user_sgpr_private_segment_size 0
		.amdhsa_wavefront_size32 1
		.amdhsa_uses_dynamic_stack 0
		.amdhsa_enable_private_segment 0
		.amdhsa_system_sgpr_workgroup_id_x 1
		.amdhsa_system_sgpr_workgroup_id_y 0
		.amdhsa_system_sgpr_workgroup_id_z 0
		.amdhsa_system_sgpr_workgroup_info 0
		.amdhsa_system_vgpr_workitem_id 0
		.amdhsa_next_free_vgpr 37
		.amdhsa_next_free_sgpr 34
		.amdhsa_reserve_vcc 1
		.amdhsa_float_round_mode_32 0
		.amdhsa_float_round_mode_16_64 0
		.amdhsa_float_denorm_mode_32 3
		.amdhsa_float_denorm_mode_16_64 3
		.amdhsa_fp16_overflow 0
		.amdhsa_workgroup_processor_mode 1
		.amdhsa_memory_ordered 1
		.amdhsa_forward_progress 1
		.amdhsa_inst_pref_size 13
		.amdhsa_round_robin_scheduling 0
		.amdhsa_exception_fp_ieee_invalid_op 0
		.amdhsa_exception_fp_denorm_src 0
		.amdhsa_exception_fp_ieee_div_zero 0
		.amdhsa_exception_fp_ieee_overflow 0
		.amdhsa_exception_fp_ieee_underflow 0
		.amdhsa_exception_fp_ieee_inexact 0
		.amdhsa_exception_int_div_zero 0
	.end_amdhsa_kernel
	.section	.text._ZN9rocsparseL22bsrxmvn_general_kernelILj64ELj8E21rocsparse_complex_numIdEllS1_IfES2_S2_EEv20rocsparse_direction_NS_24const_host_device_scalarIT1_EET3_PKS8_PKT2_SD_SA_PKT4_S8_PKT5_S7_PT6_21rocsparse_index_base_b,"axG",@progbits,_ZN9rocsparseL22bsrxmvn_general_kernelILj64ELj8E21rocsparse_complex_numIdEllS1_IfES2_S2_EEv20rocsparse_direction_NS_24const_host_device_scalarIT1_EET3_PKS8_PKT2_SD_SA_PKT4_S8_PKT5_S7_PT6_21rocsparse_index_base_b,comdat
.Lfunc_end105:
	.size	_ZN9rocsparseL22bsrxmvn_general_kernelILj64ELj8E21rocsparse_complex_numIdEllS1_IfES2_S2_EEv20rocsparse_direction_NS_24const_host_device_scalarIT1_EET3_PKS8_PKT2_SD_SA_PKT4_S8_PKT5_S7_PT6_21rocsparse_index_base_b, .Lfunc_end105-_ZN9rocsparseL22bsrxmvn_general_kernelILj64ELj8E21rocsparse_complex_numIdEllS1_IfES2_S2_EEv20rocsparse_direction_NS_24const_host_device_scalarIT1_EET3_PKS8_PKT2_SD_SA_PKT4_S8_PKT5_S7_PT6_21rocsparse_index_base_b
                                        ; -- End function
	.set _ZN9rocsparseL22bsrxmvn_general_kernelILj64ELj8E21rocsparse_complex_numIdEllS1_IfES2_S2_EEv20rocsparse_direction_NS_24const_host_device_scalarIT1_EET3_PKS8_PKT2_SD_SA_PKT4_S8_PKT5_S7_PT6_21rocsparse_index_base_b.num_vgpr, 37
	.set _ZN9rocsparseL22bsrxmvn_general_kernelILj64ELj8E21rocsparse_complex_numIdEllS1_IfES2_S2_EEv20rocsparse_direction_NS_24const_host_device_scalarIT1_EET3_PKS8_PKT2_SD_SA_PKT4_S8_PKT5_S7_PT6_21rocsparse_index_base_b.num_agpr, 0
	.set _ZN9rocsparseL22bsrxmvn_general_kernelILj64ELj8E21rocsparse_complex_numIdEllS1_IfES2_S2_EEv20rocsparse_direction_NS_24const_host_device_scalarIT1_EET3_PKS8_PKT2_SD_SA_PKT4_S8_PKT5_S7_PT6_21rocsparse_index_base_b.numbered_sgpr, 34
	.set _ZN9rocsparseL22bsrxmvn_general_kernelILj64ELj8E21rocsparse_complex_numIdEllS1_IfES2_S2_EEv20rocsparse_direction_NS_24const_host_device_scalarIT1_EET3_PKS8_PKT2_SD_SA_PKT4_S8_PKT5_S7_PT6_21rocsparse_index_base_b.num_named_barrier, 0
	.set _ZN9rocsparseL22bsrxmvn_general_kernelILj64ELj8E21rocsparse_complex_numIdEllS1_IfES2_S2_EEv20rocsparse_direction_NS_24const_host_device_scalarIT1_EET3_PKS8_PKT2_SD_SA_PKT4_S8_PKT5_S7_PT6_21rocsparse_index_base_b.private_seg_size, 0
	.set _ZN9rocsparseL22bsrxmvn_general_kernelILj64ELj8E21rocsparse_complex_numIdEllS1_IfES2_S2_EEv20rocsparse_direction_NS_24const_host_device_scalarIT1_EET3_PKS8_PKT2_SD_SA_PKT4_S8_PKT5_S7_PT6_21rocsparse_index_base_b.uses_vcc, 1
	.set _ZN9rocsparseL22bsrxmvn_general_kernelILj64ELj8E21rocsparse_complex_numIdEllS1_IfES2_S2_EEv20rocsparse_direction_NS_24const_host_device_scalarIT1_EET3_PKS8_PKT2_SD_SA_PKT4_S8_PKT5_S7_PT6_21rocsparse_index_base_b.uses_flat_scratch, 0
	.set _ZN9rocsparseL22bsrxmvn_general_kernelILj64ELj8E21rocsparse_complex_numIdEllS1_IfES2_S2_EEv20rocsparse_direction_NS_24const_host_device_scalarIT1_EET3_PKS8_PKT2_SD_SA_PKT4_S8_PKT5_S7_PT6_21rocsparse_index_base_b.has_dyn_sized_stack, 0
	.set _ZN9rocsparseL22bsrxmvn_general_kernelILj64ELj8E21rocsparse_complex_numIdEllS1_IfES2_S2_EEv20rocsparse_direction_NS_24const_host_device_scalarIT1_EET3_PKS8_PKT2_SD_SA_PKT4_S8_PKT5_S7_PT6_21rocsparse_index_base_b.has_recursion, 0
	.set _ZN9rocsparseL22bsrxmvn_general_kernelILj64ELj8E21rocsparse_complex_numIdEllS1_IfES2_S2_EEv20rocsparse_direction_NS_24const_host_device_scalarIT1_EET3_PKS8_PKT2_SD_SA_PKT4_S8_PKT5_S7_PT6_21rocsparse_index_base_b.has_indirect_call, 0
	.section	.AMDGPU.csdata,"",@progbits
; Kernel info:
; codeLenInByte = 1612
; TotalNumSgprs: 36
; NumVgprs: 37
; ScratchSize: 0
; MemoryBound: 0
; FloatMode: 240
; IeeeMode: 1
; LDSByteSize: 0 bytes/workgroup (compile time only)
; SGPRBlocks: 0
; VGPRBlocks: 4
; NumSGPRsForWavesPerEU: 36
; NumVGPRsForWavesPerEU: 37
; Occupancy: 16
; WaveLimiterHint : 0
; COMPUTE_PGM_RSRC2:SCRATCH_EN: 0
; COMPUTE_PGM_RSRC2:USER_SGPR: 2
; COMPUTE_PGM_RSRC2:TRAP_HANDLER: 0
; COMPUTE_PGM_RSRC2:TGID_X_EN: 1
; COMPUTE_PGM_RSRC2:TGID_Y_EN: 0
; COMPUTE_PGM_RSRC2:TGID_Z_EN: 0
; COMPUTE_PGM_RSRC2:TIDIG_COMP_CNT: 0
	.section	.text._ZN9rocsparseL22bsrxmvn_general_kernelILj256ELj16E21rocsparse_complex_numIdEllS1_IfES2_S2_EEv20rocsparse_direction_NS_24const_host_device_scalarIT1_EET3_PKS8_PKT2_SD_SA_PKT4_S8_PKT5_S7_PT6_21rocsparse_index_base_b,"axG",@progbits,_ZN9rocsparseL22bsrxmvn_general_kernelILj256ELj16E21rocsparse_complex_numIdEllS1_IfES2_S2_EEv20rocsparse_direction_NS_24const_host_device_scalarIT1_EET3_PKS8_PKT2_SD_SA_PKT4_S8_PKT5_S7_PT6_21rocsparse_index_base_b,comdat
	.globl	_ZN9rocsparseL22bsrxmvn_general_kernelILj256ELj16E21rocsparse_complex_numIdEllS1_IfES2_S2_EEv20rocsparse_direction_NS_24const_host_device_scalarIT1_EET3_PKS8_PKT2_SD_SA_PKT4_S8_PKT5_S7_PT6_21rocsparse_index_base_b ; -- Begin function _ZN9rocsparseL22bsrxmvn_general_kernelILj256ELj16E21rocsparse_complex_numIdEllS1_IfES2_S2_EEv20rocsparse_direction_NS_24const_host_device_scalarIT1_EET3_PKS8_PKT2_SD_SA_PKT4_S8_PKT5_S7_PT6_21rocsparse_index_base_b
	.p2align	8
	.type	_ZN9rocsparseL22bsrxmvn_general_kernelILj256ELj16E21rocsparse_complex_numIdEllS1_IfES2_S2_EEv20rocsparse_direction_NS_24const_host_device_scalarIT1_EET3_PKS8_PKT2_SD_SA_PKT4_S8_PKT5_S7_PT6_21rocsparse_index_base_b,@function
_ZN9rocsparseL22bsrxmvn_general_kernelILj256ELj16E21rocsparse_complex_numIdEllS1_IfES2_S2_EEv20rocsparse_direction_NS_24const_host_device_scalarIT1_EET3_PKS8_PKT2_SD_SA_PKT4_S8_PKT5_S7_PT6_21rocsparse_index_base_b: ; @_ZN9rocsparseL22bsrxmvn_general_kernelILj256ELj16E21rocsparse_complex_numIdEllS1_IfES2_S2_EEv20rocsparse_direction_NS_24const_host_device_scalarIT1_EET3_PKS8_PKT2_SD_SA_PKT4_S8_PKT5_S7_PT6_21rocsparse_index_base_b
; %bb.0:
	s_clause 0x1
	s_load_b64 s[12:13], s[0:1], 0x70
	s_load_b64 s[2:3], s[0:1], 0x8
	s_add_nc_u64 s[4:5], s[0:1], 8
	s_load_b64 s[6:7], s[0:1], 0x58
	s_wait_kmcnt 0x0
	s_bitcmp1_b32 s13, 0
	s_cselect_b32 s2, s4, s2
	s_cselect_b32 s3, s5, s3
	s_delay_alu instid0(SALU_CYCLE_1)
	v_dual_mov_b32 v1, s2 :: v_dual_mov_b32 v2, s3
	s_add_nc_u64 s[2:3], s[0:1], 0x58
	s_wait_alu 0xfffe
	s_cselect_b32 s2, s2, s6
	s_cselect_b32 s3, s3, s7
	flat_load_b128 v[1:4], v[1:2]
	s_wait_alu 0xfffe
	v_dual_mov_b32 v5, s2 :: v_dual_mov_b32 v6, s3
	flat_load_b128 v[5:8], v[5:6]
	s_wait_loadcnt_dscnt 0x101
	v_cmp_eq_f64_e32 vcc_lo, 0, v[1:2]
	v_cmp_eq_f64_e64 s2, 0, v[3:4]
	s_and_b32 s4, vcc_lo, s2
	s_mov_b32 s2, -1
	s_and_saveexec_b32 s3, s4
	s_cbranch_execz .LBB106_2
; %bb.1:
	s_wait_loadcnt_dscnt 0x0
	v_cmp_neq_f64_e32 vcc_lo, 1.0, v[5:6]
	v_cmp_neq_f64_e64 s2, 0, v[7:8]
	s_wait_alu 0xfffe
	s_or_b32 s2, vcc_lo, s2
	s_wait_alu 0xfffe
	s_or_not1_b32 s2, s2, exec_lo
.LBB106_2:
	s_wait_alu 0xfffe
	s_or_b32 exec_lo, exec_lo, s3
	s_and_saveexec_b32 s3, s2
	s_cbranch_execz .LBB106_24
; %bb.3:
	s_load_b64 s[2:3], s[0:1], 0x20
	s_mov_b32 s19, 0
	s_mov_b32 s18, ttmp9
	s_mov_b32 s13, s19
	s_wait_kmcnt 0x0
	s_cmp_eq_u64 s[2:3], 0
	s_cbranch_scc1 .LBB106_5
; %bb.4:
	s_lshl_b64 s[4:5], s[18:19], 3
	s_delay_alu instid0(SALU_CYCLE_1)
	s_add_nc_u64 s[2:3], s[2:3], s[4:5]
	s_load_b64 s[2:3], s[2:3], 0x0
	s_wait_kmcnt 0x0
	s_sub_nc_u64 s[18:19], s[2:3], s[12:13]
.LBB106_5:
	s_load_b64 s[14:15], s[0:1], 0x48
	v_lshrrev_b32_e32 v13, 4, v0
	v_mov_b32_e32 v14, 0
	s_wait_kmcnt 0x0
	s_delay_alu instid0(VALU_DEP_1)
	v_cmp_gt_i64_e32 vcc_lo, s[14:15], v[13:14]
	s_and_b32 exec_lo, exec_lo, vcc_lo
	s_cbranch_execz .LBB106_24
; %bb.6:
	s_clause 0x2
	s_load_b256 s[4:11], s[0:1], 0x28
	s_load_b64 s[20:21], s[0:1], 0x50
	s_load_b64 s[16:17], s[0:1], 0x68
	v_dual_mov_b32 v16, v14 :: v_dual_and_b32 v15, 15, v0
	v_mbcnt_lo_u32_b32 v0, -1, 0
	s_lshl_b64 s[22:23], s[18:19], 3
	s_wait_loadcnt_dscnt 0x0
	v_cmp_eq_f64_e32 vcc_lo, 0, v[5:6]
	v_cmp_eq_f64_e64 s2, 0, v[7:8]
	s_load_b32 s27, s[0:1], 0x0
	v_xor_b32_e32 v9, 8, v0
	v_xor_b32_e32 v10, 4, v0
	;; [unrolled: 1-line block ×4, first 2 shown]
	v_lshlrev_b32_e32 v17, 4, v15
	v_cmp_gt_i32_e64 s3, 32, v9
	s_mul_u64 s[18:19], s[18:19], s[14:15]
	v_cmp_gt_u64_e64 s0, s[14:15], v[15:16]
	v_cmp_eq_u32_e64 s1, 15, v15
	s_mov_b32 s26, 0
	s_wait_kmcnt 0x0
	s_add_nc_u64 s[4:5], s[4:5], s[22:23]
	v_cndmask_b32_e64 v9, v0, v9, s3
	s_load_b64 s[24:25], s[4:5], 0x0
	v_cmp_gt_i32_e64 s3, 32, v10
	s_add_nc_u64 s[22:23], s[6:7], s[22:23]
	s_cmp_eq_u64 s[6:7], 0
	s_add_nc_u64 s[4:5], s[4:5], 8
	s_wait_alu 0xf1ff
	v_cndmask_b32_e64 v10, v0, v10, s3
	v_cmp_gt_i32_e64 s3, 32, v11
	s_cselect_b32 s7, s5, s23
	s_cselect_b32 s6, s4, s22
	s_cmp_lg_u32 s27, 0
	v_lshlrev_b32_e32 v29, 2, v10
	s_wait_alu 0xf1ff
	v_cndmask_b32_e64 v11, v0, v11, s3
	v_cmp_gt_i32_e64 s3, 32, v12
	s_load_b64 s[22:23], s[6:7], 0x0
	v_lshlrev_b32_e32 v30, 2, v11
	v_cndmask_b32_e64 v12, v0, v12, s3
	v_lshlrev_b32_e32 v0, 2, v9
	s_wait_kmcnt 0x0
	s_sub_nc_u64 s[4:5], s[24:25], s[12:13]
	v_add_co_u32 v11, s7, s20, v17
	v_mad_co_u64_u32 v[9:10], null, s14, s4, v[13:14]
	s_mul_i32 s3, s15, s4
	s_mul_i32 s6, s14, s5
	v_lshlrev_b32_e32 v31, 2, v12
	v_add_co_ci_u32_e64 v12, null, s21, 0, s7
	s_mul_u64 s[20:21], s[14:15], s[14:15]
	s_wait_alu 0xfffe
	v_add3_u32 v10, s6, s3, v10
	v_mul_lo_u32 v21, s15, v9
	v_mad_co_u64_u32 v[17:18], null, s14, v9, 0
	v_add_co_u32 v19, s3, v11, 8
	s_delay_alu instid0(VALU_DEP_4)
	v_mul_lo_u32 v9, s14, v10
	v_cmp_lt_i64_e64 s28, s[24:25], s[22:23]
	s_wait_alu 0xf1ff
	v_add_co_ci_u32_e64 v20, null, 0, v12, s3
	s_cselect_b32 s3, -1, 0
	s_lshl_b64 s[18:19], s[18:19], 4
	s_and_b32 s27, vcc_lo, s2
	s_sub_nc_u64 s[6:7], s[22:23], s[12:13]
	v_add3_u32 v18, v18, v9, v21
	s_add_nc_u64 s[16:17], s[16:17], s[18:19]
	s_lshl_b64 s[18:19], s[14:15], 4
	s_branch .LBB106_8
.LBB106_7:                              ;   in Loop: Header=BB106_8 Depth=1
	s_wait_alu 0xfffe
	s_or_b32 exec_lo, exec_lo, s2
	v_add_co_u32 v13, vcc_lo, v13, 16
	s_wait_alu 0xfffd
	v_add_co_ci_u32_e64 v14, null, 0, v14, vcc_lo
	v_add_co_u32 v17, s2, v17, s18
	s_wait_alu 0xf1ff
	v_add_co_ci_u32_e64 v18, null, s19, v18, s2
	s_delay_alu instid0(VALU_DEP_3) | instskip(SKIP_1) | instid1(SALU_CYCLE_1)
	v_cmp_le_i64_e32 vcc_lo, s[14:15], v[13:14]
	s_or_b32 s26, vcc_lo, s26
	s_and_not1_b32 exec_lo, exec_lo, s26
	s_cbranch_execz .LBB106_24
.LBB106_8:                              ; =>This Loop Header: Depth=1
                                        ;     Child Loop BB106_12 Depth 2
                                        ;       Child Loop BB106_15 Depth 3
	v_mov_b32_e32 v9, 0
	v_dual_mov_b32 v10, 0 :: v_dual_mov_b32 v11, 0
	v_mov_b32_e32 v12, 0
	s_and_not1_b32 vcc_lo, exec_lo, s28
	s_wait_alu 0xfffe
	s_cbranch_vccnz .LBB106_19
; %bb.9:                                ;   in Loop: Header=BB106_8 Depth=1
	v_mov_b32_e32 v9, 0
	v_dual_mov_b32 v10, 0 :: v_dual_mov_b32 v11, 0
	v_mov_b32_e32 v12, 0
	s_wait_dscnt 0x2
	v_dual_mov_b32 v22, v18 :: v_dual_mov_b32 v21, v17
	s_mov_b64 s[22:23], s[4:5]
	s_branch .LBB106_12
.LBB106_10:                             ;   in Loop: Header=BB106_12 Depth=2
	s_or_b32 exec_lo, exec_lo, s30
.LBB106_11:                             ;   in Loop: Header=BB106_12 Depth=2
	s_delay_alu instid0(SALU_CYCLE_1)
	s_or_b32 exec_lo, exec_lo, s29
	s_wait_alu 0xfffe
	s_add_nc_u64 s[22:23], s[22:23], 1
	v_add_co_u32 v21, vcc_lo, v21, s20
	s_wait_alu 0xfffe
	v_cmp_ge_i64_e64 s2, s[22:23], s[6:7]
	s_wait_alu 0xfffd
	v_add_co_ci_u32_e64 v22, null, s21, v22, vcc_lo
	s_and_b32 vcc_lo, exec_lo, s2
	s_wait_alu 0xfffe
	s_cbranch_vccnz .LBB106_19
.LBB106_12:                             ;   Parent Loop BB106_8 Depth=1
                                        ; =>  This Loop Header: Depth=2
                                        ;       Child Loop BB106_15 Depth 3
	s_and_saveexec_b32 s29, s0
	s_cbranch_execz .LBB106_11
; %bb.13:                               ;   in Loop: Header=BB106_12 Depth=2
	s_wait_alu 0xfffe
	s_lshl_b64 s[24:25], s[22:23], 3
	v_dual_mov_b32 v26, v16 :: v_dual_mov_b32 v25, v15
	s_wait_alu 0xfffe
	s_add_nc_u64 s[24:25], s[8:9], s[24:25]
	s_mov_b32 s30, 0
	s_load_b64 s[24:25], s[24:25], 0x0
	s_wait_kmcnt 0x0
	s_sub_nc_u64 s[24:25], s[24:25], s[12:13]
	s_wait_dscnt 0x0
	s_wait_alu 0xfffe
	v_mad_co_u64_u32 v[23:24], null, s18, s24, v[19:20]
	s_mul_i32 s2, s19, s24
	s_mul_i32 s24, s18, s25
	s_wait_alu 0xfffe
	v_add3_u32 v24, s24, s2, v24
	s_mul_u64 s[24:25], s[22:23], s[14:15]
	s_branch .LBB106_15
.LBB106_14:                             ;   in Loop: Header=BB106_15 Depth=3
	s_delay_alu instid0(VALU_DEP_1) | instskip(NEXT) | instid1(VALU_DEP_1)
	v_lshlrev_b64_e32 v[27:28], 3, v[27:28]
	v_add_co_u32 v27, vcc_lo, s10, v27
	s_wait_alu 0xfffd
	s_delay_alu instid0(VALU_DEP_2)
	v_add_co_ci_u32_e64 v28, null, s11, v28, vcc_lo
	v_add_co_u32 v25, vcc_lo, v25, 16
	s_wait_alu 0xfffd
	v_add_co_ci_u32_e64 v26, null, 0, v26, vcc_lo
	global_load_b64 v[27:28], v[27:28], off
	global_load_b128 v[32:35], v[23:24], off offset:-8
	v_add_co_u32 v23, s2, 0x100, v23
	v_cmp_le_i64_e32 vcc_lo, s[14:15], v[25:26]
	s_wait_alu 0xf1ff
	v_add_co_ci_u32_e64 v24, null, 0, v24, s2
	s_or_b32 s30, vcc_lo, s30
	s_wait_loadcnt 0x1
	v_cvt_f64_f32_e32 v[36:37], v27
	v_cvt_f64_f32_e32 v[27:28], v28
	s_wait_loadcnt 0x0
	s_delay_alu instid0(VALU_DEP_2) | instskip(NEXT) | instid1(VALU_DEP_2)
	v_fma_f64 v[11:12], v[36:37], v[32:33], v[11:12]
	v_fma_f64 v[9:10], v[27:28], v[32:33], v[9:10]
	s_delay_alu instid0(VALU_DEP_2) | instskip(NEXT) | instid1(VALU_DEP_2)
	v_fma_f64 v[11:12], -v[27:28], v[34:35], v[11:12]
	v_fma_f64 v[9:10], v[36:37], v[34:35], v[9:10]
	s_and_not1_b32 exec_lo, exec_lo, s30
	s_cbranch_execz .LBB106_10
.LBB106_15:                             ;   Parent Loop BB106_8 Depth=1
                                        ;     Parent Loop BB106_12 Depth=2
                                        ; =>    This Inner Loop Header: Depth=3
	s_and_b32 vcc_lo, exec_lo, s3
	s_wait_alu 0xfffe
	s_cbranch_vccz .LBB106_17
; %bb.16:                               ;   in Loop: Header=BB106_15 Depth=3
	v_add_co_u32 v27, vcc_lo, v25, s24
	s_wait_alu 0xfffd
	v_add_co_ci_u32_e64 v28, null, s25, v26, vcc_lo
	s_delay_alu instid0(VALU_DEP_2) | instskip(NEXT) | instid1(VALU_DEP_2)
	v_mul_lo_u32 v32, v27, s15
	v_mul_lo_u32 v33, v28, s14
	v_mad_co_u64_u32 v[27:28], null, v27, s14, v[13:14]
	s_delay_alu instid0(VALU_DEP_1)
	v_add3_u32 v28, v33, v28, v32
	s_cbranch_execnz .LBB106_14
	s_branch .LBB106_18
.LBB106_17:                             ;   in Loop: Header=BB106_15 Depth=3
                                        ; implicit-def: $vgpr27_vgpr28
.LBB106_18:                             ;   in Loop: Header=BB106_15 Depth=3
	v_add_co_u32 v27, vcc_lo, v21, v25
	s_wait_alu 0xfffd
	v_add_co_ci_u32_e64 v28, null, v22, v26, vcc_lo
	s_branch .LBB106_14
.LBB106_19:                             ;   in Loop: Header=BB106_8 Depth=1
	s_wait_dscnt 0x3
	ds_bpermute_b32 v21, v0, v11
	s_wait_dscnt 0x3
	ds_bpermute_b32 v22, v0, v12
	;; [unrolled: 2-line block ×4, first 2 shown]
	s_wait_dscnt 0x2
	v_add_f64_e32 v[11:12], v[11:12], v[21:22]
	s_wait_dscnt 0x0
	v_add_f64_e32 v[9:10], v[9:10], v[23:24]
	ds_bpermute_b32 v21, v29, v11
	ds_bpermute_b32 v22, v29, v12
	ds_bpermute_b32 v23, v29, v9
	ds_bpermute_b32 v24, v29, v10
	s_wait_dscnt 0x2
	v_add_f64_e32 v[11:12], v[11:12], v[21:22]
	s_wait_dscnt 0x0
	v_add_f64_e32 v[21:22], v[9:10], v[23:24]
	ds_bpermute_b32 v9, v30, v11
	ds_bpermute_b32 v10, v30, v12
	ds_bpermute_b32 v23, v30, v21
	ds_bpermute_b32 v24, v30, v22
	;; [unrolled: 8-line block ×3, first 2 shown]
	s_and_saveexec_b32 s2, s1
	s_cbranch_execz .LBB106_7
; %bb.20:                               ;   in Loop: Header=BB106_8 Depth=1
	s_wait_dscnt 0x0
	v_add_f64_e32 v[11:12], v[11:12], v[23:24]
	v_add_f64_e32 v[21:22], v[9:10], v[21:22]
	s_delay_alu instid0(VALU_DEP_2) | instskip(SKIP_1) | instid1(VALU_DEP_2)
	v_mul_f64_e64 v[9:10], v[11:12], -v[3:4]
	v_mul_f64_e32 v[11:12], v[1:2], v[11:12]
	v_fma_f64 v[9:10], v[1:2], v[21:22], v[9:10]
	s_delay_alu instid0(VALU_DEP_2)
	v_fma_f64 v[11:12], v[3:4], v[21:22], v[11:12]
	v_lshlrev_b64_e32 v[21:22], 4, v[13:14]
	s_and_saveexec_b32 s22, s27
	s_wait_alu 0xfffe
	s_xor_b32 s22, exec_lo, s22
	s_cbranch_execz .LBB106_22
; %bb.21:                               ;   in Loop: Header=BB106_8 Depth=1
	s_delay_alu instid0(VALU_DEP_1)
	v_add_co_u32 v21, vcc_lo, s16, v21
	s_wait_alu 0xfffd
	v_add_co_ci_u32_e64 v22, null, s17, v22, vcc_lo
	global_store_b128 v[21:22], v[9:12], off
                                        ; implicit-def: $vgpr21_vgpr22
                                        ; implicit-def: $vgpr9_vgpr10
.LBB106_22:                             ;   in Loop: Header=BB106_8 Depth=1
	s_wait_alu 0xfffe
	s_and_not1_saveexec_b32 s22, s22
	s_cbranch_execz .LBB106_7
; %bb.23:                               ;   in Loop: Header=BB106_8 Depth=1
	v_add_co_u32 v25, vcc_lo, s16, v21
	s_wait_alu 0xfffd
	v_add_co_ci_u32_e64 v26, null, s17, v22, vcc_lo
	global_load_b128 v[21:24], v[25:26], off
	s_wait_loadcnt 0x0
	v_fma_f64 v[9:10], v[5:6], v[21:22], v[9:10]
	v_fma_f64 v[11:12], v[7:8], v[21:22], v[11:12]
	s_delay_alu instid0(VALU_DEP_2) | instskip(NEXT) | instid1(VALU_DEP_2)
	v_fma_f64 v[9:10], -v[7:8], v[23:24], v[9:10]
	v_fma_f64 v[11:12], v[5:6], v[23:24], v[11:12]
	global_store_b128 v[25:26], v[9:12], off
	s_branch .LBB106_7
.LBB106_24:
	s_endpgm
	.section	.rodata,"a",@progbits
	.p2align	6, 0x0
	.amdhsa_kernel _ZN9rocsparseL22bsrxmvn_general_kernelILj256ELj16E21rocsparse_complex_numIdEllS1_IfES2_S2_EEv20rocsparse_direction_NS_24const_host_device_scalarIT1_EET3_PKS8_PKT2_SD_SA_PKT4_S8_PKT5_S7_PT6_21rocsparse_index_base_b
		.amdhsa_group_segment_fixed_size 0
		.amdhsa_private_segment_fixed_size 0
		.amdhsa_kernarg_size 120
		.amdhsa_user_sgpr_count 2
		.amdhsa_user_sgpr_dispatch_ptr 0
		.amdhsa_user_sgpr_queue_ptr 0
		.amdhsa_user_sgpr_kernarg_segment_ptr 1
		.amdhsa_user_sgpr_dispatch_id 0
		.amdhsa_user_sgpr_private_segment_size 0
		.amdhsa_wavefront_size32 1
		.amdhsa_uses_dynamic_stack 0
		.amdhsa_enable_private_segment 0
		.amdhsa_system_sgpr_workgroup_id_x 1
		.amdhsa_system_sgpr_workgroup_id_y 0
		.amdhsa_system_sgpr_workgroup_id_z 0
		.amdhsa_system_sgpr_workgroup_info 0
		.amdhsa_system_vgpr_workitem_id 0
		.amdhsa_next_free_vgpr 38
		.amdhsa_next_free_sgpr 31
		.amdhsa_reserve_vcc 1
		.amdhsa_float_round_mode_32 0
		.amdhsa_float_round_mode_16_64 0
		.amdhsa_float_denorm_mode_32 3
		.amdhsa_float_denorm_mode_16_64 3
		.amdhsa_fp16_overflow 0
		.amdhsa_workgroup_processor_mode 1
		.amdhsa_memory_ordered 1
		.amdhsa_forward_progress 1
		.amdhsa_inst_pref_size 14
		.amdhsa_round_robin_scheduling 0
		.amdhsa_exception_fp_ieee_invalid_op 0
		.amdhsa_exception_fp_denorm_src 0
		.amdhsa_exception_fp_ieee_div_zero 0
		.amdhsa_exception_fp_ieee_overflow 0
		.amdhsa_exception_fp_ieee_underflow 0
		.amdhsa_exception_fp_ieee_inexact 0
		.amdhsa_exception_int_div_zero 0
	.end_amdhsa_kernel
	.section	.text._ZN9rocsparseL22bsrxmvn_general_kernelILj256ELj16E21rocsparse_complex_numIdEllS1_IfES2_S2_EEv20rocsparse_direction_NS_24const_host_device_scalarIT1_EET3_PKS8_PKT2_SD_SA_PKT4_S8_PKT5_S7_PT6_21rocsparse_index_base_b,"axG",@progbits,_ZN9rocsparseL22bsrxmvn_general_kernelILj256ELj16E21rocsparse_complex_numIdEllS1_IfES2_S2_EEv20rocsparse_direction_NS_24const_host_device_scalarIT1_EET3_PKS8_PKT2_SD_SA_PKT4_S8_PKT5_S7_PT6_21rocsparse_index_base_b,comdat
.Lfunc_end106:
	.size	_ZN9rocsparseL22bsrxmvn_general_kernelILj256ELj16E21rocsparse_complex_numIdEllS1_IfES2_S2_EEv20rocsparse_direction_NS_24const_host_device_scalarIT1_EET3_PKS8_PKT2_SD_SA_PKT4_S8_PKT5_S7_PT6_21rocsparse_index_base_b, .Lfunc_end106-_ZN9rocsparseL22bsrxmvn_general_kernelILj256ELj16E21rocsparse_complex_numIdEllS1_IfES2_S2_EEv20rocsparse_direction_NS_24const_host_device_scalarIT1_EET3_PKS8_PKT2_SD_SA_PKT4_S8_PKT5_S7_PT6_21rocsparse_index_base_b
                                        ; -- End function
	.set _ZN9rocsparseL22bsrxmvn_general_kernelILj256ELj16E21rocsparse_complex_numIdEllS1_IfES2_S2_EEv20rocsparse_direction_NS_24const_host_device_scalarIT1_EET3_PKS8_PKT2_SD_SA_PKT4_S8_PKT5_S7_PT6_21rocsparse_index_base_b.num_vgpr, 38
	.set _ZN9rocsparseL22bsrxmvn_general_kernelILj256ELj16E21rocsparse_complex_numIdEllS1_IfES2_S2_EEv20rocsparse_direction_NS_24const_host_device_scalarIT1_EET3_PKS8_PKT2_SD_SA_PKT4_S8_PKT5_S7_PT6_21rocsparse_index_base_b.num_agpr, 0
	.set _ZN9rocsparseL22bsrxmvn_general_kernelILj256ELj16E21rocsparse_complex_numIdEllS1_IfES2_S2_EEv20rocsparse_direction_NS_24const_host_device_scalarIT1_EET3_PKS8_PKT2_SD_SA_PKT4_S8_PKT5_S7_PT6_21rocsparse_index_base_b.numbered_sgpr, 31
	.set _ZN9rocsparseL22bsrxmvn_general_kernelILj256ELj16E21rocsparse_complex_numIdEllS1_IfES2_S2_EEv20rocsparse_direction_NS_24const_host_device_scalarIT1_EET3_PKS8_PKT2_SD_SA_PKT4_S8_PKT5_S7_PT6_21rocsparse_index_base_b.num_named_barrier, 0
	.set _ZN9rocsparseL22bsrxmvn_general_kernelILj256ELj16E21rocsparse_complex_numIdEllS1_IfES2_S2_EEv20rocsparse_direction_NS_24const_host_device_scalarIT1_EET3_PKS8_PKT2_SD_SA_PKT4_S8_PKT5_S7_PT6_21rocsparse_index_base_b.private_seg_size, 0
	.set _ZN9rocsparseL22bsrxmvn_general_kernelILj256ELj16E21rocsparse_complex_numIdEllS1_IfES2_S2_EEv20rocsparse_direction_NS_24const_host_device_scalarIT1_EET3_PKS8_PKT2_SD_SA_PKT4_S8_PKT5_S7_PT6_21rocsparse_index_base_b.uses_vcc, 1
	.set _ZN9rocsparseL22bsrxmvn_general_kernelILj256ELj16E21rocsparse_complex_numIdEllS1_IfES2_S2_EEv20rocsparse_direction_NS_24const_host_device_scalarIT1_EET3_PKS8_PKT2_SD_SA_PKT4_S8_PKT5_S7_PT6_21rocsparse_index_base_b.uses_flat_scratch, 0
	.set _ZN9rocsparseL22bsrxmvn_general_kernelILj256ELj16E21rocsparse_complex_numIdEllS1_IfES2_S2_EEv20rocsparse_direction_NS_24const_host_device_scalarIT1_EET3_PKS8_PKT2_SD_SA_PKT4_S8_PKT5_S7_PT6_21rocsparse_index_base_b.has_dyn_sized_stack, 0
	.set _ZN9rocsparseL22bsrxmvn_general_kernelILj256ELj16E21rocsparse_complex_numIdEllS1_IfES2_S2_EEv20rocsparse_direction_NS_24const_host_device_scalarIT1_EET3_PKS8_PKT2_SD_SA_PKT4_S8_PKT5_S7_PT6_21rocsparse_index_base_b.has_recursion, 0
	.set _ZN9rocsparseL22bsrxmvn_general_kernelILj256ELj16E21rocsparse_complex_numIdEllS1_IfES2_S2_EEv20rocsparse_direction_NS_24const_host_device_scalarIT1_EET3_PKS8_PKT2_SD_SA_PKT4_S8_PKT5_S7_PT6_21rocsparse_index_base_b.has_indirect_call, 0
	.section	.AMDGPU.csdata,"",@progbits
; Kernel info:
; codeLenInByte = 1668
; TotalNumSgprs: 33
; NumVgprs: 38
; ScratchSize: 0
; MemoryBound: 0
; FloatMode: 240
; IeeeMode: 1
; LDSByteSize: 0 bytes/workgroup (compile time only)
; SGPRBlocks: 0
; VGPRBlocks: 4
; NumSGPRsForWavesPerEU: 33
; NumVGPRsForWavesPerEU: 38
; Occupancy: 16
; WaveLimiterHint : 0
; COMPUTE_PGM_RSRC2:SCRATCH_EN: 0
; COMPUTE_PGM_RSRC2:USER_SGPR: 2
; COMPUTE_PGM_RSRC2:TRAP_HANDLER: 0
; COMPUTE_PGM_RSRC2:TGID_X_EN: 1
; COMPUTE_PGM_RSRC2:TGID_Y_EN: 0
; COMPUTE_PGM_RSRC2:TGID_Z_EN: 0
; COMPUTE_PGM_RSRC2:TIDIG_COMP_CNT: 0
	.section	.text._ZN9rocsparseL22bsrxmvn_general_kernelILj1024ELj32E21rocsparse_complex_numIdEllS1_IfES2_S2_EEv20rocsparse_direction_NS_24const_host_device_scalarIT1_EET3_PKS8_PKT2_SD_SA_PKT4_S8_PKT5_S7_PT6_21rocsparse_index_base_b,"axG",@progbits,_ZN9rocsparseL22bsrxmvn_general_kernelILj1024ELj32E21rocsparse_complex_numIdEllS1_IfES2_S2_EEv20rocsparse_direction_NS_24const_host_device_scalarIT1_EET3_PKS8_PKT2_SD_SA_PKT4_S8_PKT5_S7_PT6_21rocsparse_index_base_b,comdat
	.globl	_ZN9rocsparseL22bsrxmvn_general_kernelILj1024ELj32E21rocsparse_complex_numIdEllS1_IfES2_S2_EEv20rocsparse_direction_NS_24const_host_device_scalarIT1_EET3_PKS8_PKT2_SD_SA_PKT4_S8_PKT5_S7_PT6_21rocsparse_index_base_b ; -- Begin function _ZN9rocsparseL22bsrxmvn_general_kernelILj1024ELj32E21rocsparse_complex_numIdEllS1_IfES2_S2_EEv20rocsparse_direction_NS_24const_host_device_scalarIT1_EET3_PKS8_PKT2_SD_SA_PKT4_S8_PKT5_S7_PT6_21rocsparse_index_base_b
	.p2align	8
	.type	_ZN9rocsparseL22bsrxmvn_general_kernelILj1024ELj32E21rocsparse_complex_numIdEllS1_IfES2_S2_EEv20rocsparse_direction_NS_24const_host_device_scalarIT1_EET3_PKS8_PKT2_SD_SA_PKT4_S8_PKT5_S7_PT6_21rocsparse_index_base_b,@function
_ZN9rocsparseL22bsrxmvn_general_kernelILj1024ELj32E21rocsparse_complex_numIdEllS1_IfES2_S2_EEv20rocsparse_direction_NS_24const_host_device_scalarIT1_EET3_PKS8_PKT2_SD_SA_PKT4_S8_PKT5_S7_PT6_21rocsparse_index_base_b: ; @_ZN9rocsparseL22bsrxmvn_general_kernelILj1024ELj32E21rocsparse_complex_numIdEllS1_IfES2_S2_EEv20rocsparse_direction_NS_24const_host_device_scalarIT1_EET3_PKS8_PKT2_SD_SA_PKT4_S8_PKT5_S7_PT6_21rocsparse_index_base_b
; %bb.0:
	s_clause 0x1
	s_load_b64 s[12:13], s[0:1], 0x70
	s_load_b64 s[2:3], s[0:1], 0x8
	s_add_nc_u64 s[4:5], s[0:1], 8
	s_load_b64 s[6:7], s[0:1], 0x58
	s_wait_kmcnt 0x0
	s_bitcmp1_b32 s13, 0
	s_cselect_b32 s2, s4, s2
	s_cselect_b32 s3, s5, s3
	s_delay_alu instid0(SALU_CYCLE_1)
	v_dual_mov_b32 v1, s2 :: v_dual_mov_b32 v2, s3
	s_add_nc_u64 s[2:3], s[0:1], 0x58
	s_wait_alu 0xfffe
	s_cselect_b32 s2, s2, s6
	s_cselect_b32 s3, s3, s7
	flat_load_b128 v[1:4], v[1:2]
	s_wait_alu 0xfffe
	v_dual_mov_b32 v5, s2 :: v_dual_mov_b32 v6, s3
	flat_load_b128 v[5:8], v[5:6]
	s_wait_loadcnt_dscnt 0x101
	v_cmp_eq_f64_e32 vcc_lo, 0, v[1:2]
	v_cmp_eq_f64_e64 s2, 0, v[3:4]
	s_and_b32 s4, vcc_lo, s2
	s_mov_b32 s2, -1
	s_and_saveexec_b32 s3, s4
	s_cbranch_execz .LBB107_2
; %bb.1:
	s_wait_loadcnt_dscnt 0x0
	v_cmp_neq_f64_e32 vcc_lo, 1.0, v[5:6]
	v_cmp_neq_f64_e64 s2, 0, v[7:8]
	s_wait_alu 0xfffe
	s_or_b32 s2, vcc_lo, s2
	s_wait_alu 0xfffe
	s_or_not1_b32 s2, s2, exec_lo
.LBB107_2:
	s_wait_alu 0xfffe
	s_or_b32 exec_lo, exec_lo, s3
	s_and_saveexec_b32 s3, s2
	s_cbranch_execz .LBB107_24
; %bb.3:
	s_load_b64 s[2:3], s[0:1], 0x20
	s_mov_b32 s21, 0
	s_mov_b32 s20, ttmp9
	s_mov_b32 s13, s21
	s_wait_kmcnt 0x0
	s_cmp_eq_u64 s[2:3], 0
	s_cbranch_scc1 .LBB107_5
; %bb.4:
	s_lshl_b64 s[4:5], s[20:21], 3
	s_delay_alu instid0(SALU_CYCLE_1)
	s_add_nc_u64 s[2:3], s[2:3], s[4:5]
	s_load_b64 s[2:3], s[2:3], 0x0
	s_wait_kmcnt 0x0
	s_sub_nc_u64 s[20:21], s[2:3], s[12:13]
.LBB107_5:
	s_load_b64 s[14:15], s[0:1], 0x48
	v_lshrrev_b32_e32 v13, 5, v0
	v_mov_b32_e32 v14, 0
	s_wait_kmcnt 0x0
	s_delay_alu instid0(VALU_DEP_1)
	v_cmp_gt_i64_e32 vcc_lo, s[14:15], v[13:14]
	s_and_b32 exec_lo, exec_lo, vcc_lo
	s_cbranch_execz .LBB107_24
; %bb.6:
	s_clause 0x2
	s_load_b256 s[4:11], s[0:1], 0x28
	s_load_b64 s[16:17], s[0:1], 0x50
	s_load_b64 s[18:19], s[0:1], 0x68
	v_dual_mov_b32 v16, v14 :: v_dual_and_b32 v15, 31, v0
	v_mbcnt_lo_u32_b32 v0, -1, 0
	s_lshl_b64 s[22:23], s[20:21], 3
	s_wait_loadcnt_dscnt 0x0
	v_cmp_eq_f64_e32 vcc_lo, 0, v[5:6]
	v_cmp_eq_f64_e64 s2, 0, v[7:8]
	s_load_b32 s26, s[0:1], 0x0
	v_xor_b32_e32 v9, 16, v0
	v_xor_b32_e32 v10, 8, v0
	;; [unrolled: 1-line block ×5, first 2 shown]
	v_cmp_gt_i32_e64 s3, 32, v9
	v_lshlrev_b32_e32 v19, 4, v15
	s_mul_u64 s[20:21], s[20:21], s[14:15]
	v_cmp_gt_u64_e64 s0, s[14:15], v[15:16]
	v_cmp_eq_u32_e64 s1, 31, v15
	s_wait_kmcnt 0x0
	s_add_nc_u64 s[4:5], s[4:5], s[22:23]
	v_cndmask_b32_e64 v9, v0, v9, s3
	s_load_b64 s[24:25], s[4:5], 0x0
	v_cmp_gt_i32_e64 s3, 32, v10
	s_add_nc_u64 s[22:23], s[6:7], s[22:23]
	s_cmp_eq_u64 s[6:7], 0
	s_add_nc_u64 s[4:5], s[4:5], 8
	s_mov_b32 s28, 0
	s_wait_alu 0xf1ff
	v_cndmask_b32_e64 v10, v0, v10, s3
	v_cmp_gt_i32_e64 s3, 32, v11
	s_cselect_b32 s5, s5, s23
	s_cselect_b32 s4, s4, s22
	s_cmp_lg_u32 s26, 0
	s_load_b64 s[22:23], s[4:5], 0x0
	v_cndmask_b32_e64 v11, v0, v11, s3
	v_cmp_gt_i32_e64 s3, 32, v12
	v_lshlrev_b32_e32 v29, 2, v10
	s_delay_alu instid0(VALU_DEP_3) | instskip(SKIP_1) | instid1(VALU_DEP_3)
	v_lshlrev_b32_e32 v30, 2, v11
	s_wait_alu 0xf1ff
	v_cndmask_b32_e64 v12, v0, v12, s3
	v_cmp_gt_i32_e64 s3, 32, v17
	s_wait_kmcnt 0x0
	s_sub_nc_u64 s[4:5], s[24:25], s[12:13]
	s_delay_alu instid0(SALU_CYCLE_1)
	s_mul_i32 s6, s15, s4
	s_mul_i32 s7, s14, s5
	v_cndmask_b32_e64 v17, v0, v17, s3
	v_lshlrev_b32_e32 v0, 2, v9
	v_mad_co_u64_u32 v[9:10], null, s14, s4, v[13:14]
	s_cselect_b32 s3, -1, 0
	v_lshlrev_b32_e32 v32, 2, v17
	s_and_b32 s29, vcc_lo, s2
	v_lshlrev_b32_e32 v31, 2, v12
	v_cmp_lt_i64_e64 s30, s[24:25], s[22:23]
	s_lshl_b64 s[20:21], s[20:21], 4
	v_add3_u32 v10, s7, s6, v10
	v_mul_lo_u32 v11, s15, v9
	v_mad_co_u64_u32 v[17:18], null, s14, v9, 0
	s_sub_nc_u64 s[6:7], s[22:23], s[12:13]
	v_mul_lo_u32 v9, s14, v10
	v_add_co_u32 v10, s2, s16, v19
	s_wait_alu 0xf1ff
	v_add_co_ci_u32_e64 v12, null, s17, 0, s2
	s_add_nc_u64 s[16:17], s[18:19], s[20:21]
	v_add_co_u32 v19, vcc_lo, v10, 8
	s_delay_alu instid0(VALU_DEP_1)
	v_add_co_ci_u32_e64 v20, null, 0, v12, vcc_lo
	v_add3_u32 v18, v18, v9, v11
	s_lshl_b64 s[18:19], s[14:15], 4
	s_lshl_b64 s[20:21], s[14:15], 5
	s_mul_u64 s[22:23], s[14:15], s[14:15]
	s_branch .LBB107_8
.LBB107_7:                              ;   in Loop: Header=BB107_8 Depth=1
	s_wait_alu 0xfffe
	s_or_b32 exec_lo, exec_lo, s2
	v_add_co_u32 v13, vcc_lo, v13, 32
	s_wait_alu 0xfffd
	v_add_co_ci_u32_e64 v14, null, 0, v14, vcc_lo
	v_add_co_u32 v17, s2, v17, s20
	s_wait_alu 0xf1ff
	v_add_co_ci_u32_e64 v18, null, s21, v18, s2
	s_delay_alu instid0(VALU_DEP_3) | instskip(SKIP_1) | instid1(SALU_CYCLE_1)
	v_cmp_le_i64_e32 vcc_lo, s[14:15], v[13:14]
	s_or_b32 s28, vcc_lo, s28
	s_and_not1_b32 exec_lo, exec_lo, s28
	s_cbranch_execz .LBB107_24
.LBB107_8:                              ; =>This Loop Header: Depth=1
                                        ;     Child Loop BB107_12 Depth 2
                                        ;       Child Loop BB107_15 Depth 3
	v_mov_b32_e32 v9, 0
	v_dual_mov_b32 v10, 0 :: v_dual_mov_b32 v11, 0
	v_mov_b32_e32 v12, 0
	s_and_not1_b32 vcc_lo, exec_lo, s30
	s_wait_alu 0xfffe
	s_cbranch_vccnz .LBB107_19
; %bb.9:                                ;   in Loop: Header=BB107_8 Depth=1
	v_mov_b32_e32 v9, 0
	v_dual_mov_b32 v10, 0 :: v_dual_mov_b32 v11, 0
	v_mov_b32_e32 v12, 0
	s_wait_dscnt 0x2
	v_dual_mov_b32 v22, v18 :: v_dual_mov_b32 v21, v17
	s_mov_b64 s[24:25], s[4:5]
	s_branch .LBB107_12
.LBB107_10:                             ;   in Loop: Header=BB107_12 Depth=2
	s_or_b32 exec_lo, exec_lo, s33
.LBB107_11:                             ;   in Loop: Header=BB107_12 Depth=2
	s_delay_alu instid0(SALU_CYCLE_1)
	s_or_b32 exec_lo, exec_lo, s31
	s_wait_alu 0xfffe
	s_add_nc_u64 s[24:25], s[24:25], 1
	v_add_co_u32 v21, vcc_lo, v21, s22
	s_wait_alu 0xfffe
	v_cmp_ge_i64_e64 s2, s[24:25], s[6:7]
	s_wait_alu 0xfffd
	v_add_co_ci_u32_e64 v22, null, s23, v22, vcc_lo
	s_and_b32 vcc_lo, exec_lo, s2
	s_wait_alu 0xfffe
	s_cbranch_vccnz .LBB107_19
.LBB107_12:                             ;   Parent Loop BB107_8 Depth=1
                                        ; =>  This Loop Header: Depth=2
                                        ;       Child Loop BB107_15 Depth 3
	s_and_saveexec_b32 s31, s0
	s_cbranch_execz .LBB107_11
; %bb.13:                               ;   in Loop: Header=BB107_12 Depth=2
	s_wait_alu 0xfffe
	s_lshl_b64 s[26:27], s[24:25], 3
	v_dual_mov_b32 v26, v16 :: v_dual_mov_b32 v25, v15
	s_wait_alu 0xfffe
	s_add_nc_u64 s[26:27], s[8:9], s[26:27]
	s_mov_b32 s33, 0
	s_load_b64 s[26:27], s[26:27], 0x0
	s_wait_kmcnt 0x0
	s_sub_nc_u64 s[26:27], s[26:27], s[12:13]
	s_wait_dscnt 0x0
	s_wait_alu 0xfffe
	v_mad_co_u64_u32 v[23:24], null, s18, s26, v[19:20]
	s_mul_i32 s2, s19, s26
	s_mul_i32 s26, s18, s27
	s_wait_alu 0xfffe
	v_add3_u32 v24, s26, s2, v24
	s_mul_u64 s[26:27], s[24:25], s[14:15]
	s_branch .LBB107_15
.LBB107_14:                             ;   in Loop: Header=BB107_15 Depth=3
	s_delay_alu instid0(VALU_DEP_1) | instskip(NEXT) | instid1(VALU_DEP_1)
	v_lshlrev_b64_e32 v[27:28], 3, v[27:28]
	v_add_co_u32 v27, vcc_lo, s10, v27
	s_wait_alu 0xfffd
	s_delay_alu instid0(VALU_DEP_2)
	v_add_co_ci_u32_e64 v28, null, s11, v28, vcc_lo
	v_add_co_u32 v25, vcc_lo, v25, 32
	s_wait_alu 0xfffd
	v_add_co_ci_u32_e64 v26, null, 0, v26, vcc_lo
	global_load_b64 v[27:28], v[27:28], off
	global_load_b128 v[33:36], v[23:24], off offset:-8
	v_add_co_u32 v23, s2, 0x200, v23
	v_cmp_le_i64_e32 vcc_lo, s[14:15], v[25:26]
	s_wait_alu 0xf1ff
	v_add_co_ci_u32_e64 v24, null, 0, v24, s2
	s_or_b32 s33, vcc_lo, s33
	s_wait_loadcnt 0x1
	v_cvt_f64_f32_e32 v[37:38], v27
	v_cvt_f64_f32_e32 v[27:28], v28
	s_wait_loadcnt 0x0
	s_delay_alu instid0(VALU_DEP_2) | instskip(NEXT) | instid1(VALU_DEP_2)
	v_fma_f64 v[11:12], v[37:38], v[33:34], v[11:12]
	v_fma_f64 v[9:10], v[27:28], v[33:34], v[9:10]
	s_delay_alu instid0(VALU_DEP_2) | instskip(NEXT) | instid1(VALU_DEP_2)
	v_fma_f64 v[11:12], -v[27:28], v[35:36], v[11:12]
	v_fma_f64 v[9:10], v[37:38], v[35:36], v[9:10]
	s_and_not1_b32 exec_lo, exec_lo, s33
	s_cbranch_execz .LBB107_10
.LBB107_15:                             ;   Parent Loop BB107_8 Depth=1
                                        ;     Parent Loop BB107_12 Depth=2
                                        ; =>    This Inner Loop Header: Depth=3
	s_and_b32 vcc_lo, exec_lo, s3
	s_wait_alu 0xfffe
	s_cbranch_vccz .LBB107_17
; %bb.16:                               ;   in Loop: Header=BB107_15 Depth=3
	v_add_co_u32 v27, vcc_lo, v25, s26
	s_wait_alu 0xfffd
	v_add_co_ci_u32_e64 v28, null, s27, v26, vcc_lo
	s_delay_alu instid0(VALU_DEP_2) | instskip(NEXT) | instid1(VALU_DEP_2)
	v_mul_lo_u32 v33, v27, s15
	v_mul_lo_u32 v34, v28, s14
	v_mad_co_u64_u32 v[27:28], null, v27, s14, v[13:14]
	s_delay_alu instid0(VALU_DEP_1)
	v_add3_u32 v28, v34, v28, v33
	s_cbranch_execnz .LBB107_14
	s_branch .LBB107_18
.LBB107_17:                             ;   in Loop: Header=BB107_15 Depth=3
                                        ; implicit-def: $vgpr27_vgpr28
.LBB107_18:                             ;   in Loop: Header=BB107_15 Depth=3
	v_add_co_u32 v27, vcc_lo, v21, v25
	s_wait_alu 0xfffd
	v_add_co_ci_u32_e64 v28, null, v22, v26, vcc_lo
	s_branch .LBB107_14
.LBB107_19:                             ;   in Loop: Header=BB107_8 Depth=1
	s_wait_dscnt 0x3
	ds_bpermute_b32 v21, v0, v11
	s_wait_dscnt 0x3
	ds_bpermute_b32 v22, v0, v12
	s_wait_dscnt 0x3
	ds_bpermute_b32 v23, v0, v9
	s_wait_dscnt 0x3
	ds_bpermute_b32 v24, v0, v10
	s_wait_dscnt 0x2
	v_add_f64_e32 v[11:12], v[11:12], v[21:22]
	s_wait_dscnt 0x0
	v_add_f64_e32 v[9:10], v[9:10], v[23:24]
	ds_bpermute_b32 v21, v29, v11
	ds_bpermute_b32 v22, v29, v12
	ds_bpermute_b32 v23, v29, v9
	ds_bpermute_b32 v24, v29, v10
	s_wait_dscnt 0x2
	v_add_f64_e32 v[11:12], v[11:12], v[21:22]
	s_wait_dscnt 0x0
	v_add_f64_e32 v[9:10], v[9:10], v[23:24]
	ds_bpermute_b32 v21, v30, v11
	ds_bpermute_b32 v22, v30, v12
	ds_bpermute_b32 v23, v30, v9
	ds_bpermute_b32 v24, v30, v10
	;; [unrolled: 8-line block ×4, first 2 shown]
	s_and_saveexec_b32 s2, s1
	s_cbranch_execz .LBB107_7
; %bb.20:                               ;   in Loop: Header=BB107_8 Depth=1
	s_wait_dscnt 0x0
	v_add_f64_e32 v[11:12], v[11:12], v[23:24]
	v_add_f64_e32 v[21:22], v[9:10], v[21:22]
	s_delay_alu instid0(VALU_DEP_2) | instskip(SKIP_1) | instid1(VALU_DEP_2)
	v_mul_f64_e64 v[9:10], v[11:12], -v[3:4]
	v_mul_f64_e32 v[11:12], v[1:2], v[11:12]
	v_fma_f64 v[9:10], v[1:2], v[21:22], v[9:10]
	s_delay_alu instid0(VALU_DEP_2)
	v_fma_f64 v[11:12], v[3:4], v[21:22], v[11:12]
	v_lshlrev_b64_e32 v[21:22], 4, v[13:14]
	s_and_saveexec_b32 s24, s29
	s_wait_alu 0xfffe
	s_xor_b32 s24, exec_lo, s24
	s_cbranch_execz .LBB107_22
; %bb.21:                               ;   in Loop: Header=BB107_8 Depth=1
	s_delay_alu instid0(VALU_DEP_1)
	v_add_co_u32 v21, vcc_lo, s16, v21
	s_wait_alu 0xfffd
	v_add_co_ci_u32_e64 v22, null, s17, v22, vcc_lo
	global_store_b128 v[21:22], v[9:12], off
                                        ; implicit-def: $vgpr21_vgpr22
                                        ; implicit-def: $vgpr9_vgpr10
.LBB107_22:                             ;   in Loop: Header=BB107_8 Depth=1
	s_wait_alu 0xfffe
	s_and_not1_saveexec_b32 s24, s24
	s_cbranch_execz .LBB107_7
; %bb.23:                               ;   in Loop: Header=BB107_8 Depth=1
	v_add_co_u32 v25, vcc_lo, s16, v21
	s_wait_alu 0xfffd
	v_add_co_ci_u32_e64 v26, null, s17, v22, vcc_lo
	global_load_b128 v[21:24], v[25:26], off
	s_wait_loadcnt 0x0
	v_fma_f64 v[9:10], v[5:6], v[21:22], v[9:10]
	v_fma_f64 v[11:12], v[7:8], v[21:22], v[11:12]
	s_delay_alu instid0(VALU_DEP_2) | instskip(NEXT) | instid1(VALU_DEP_2)
	v_fma_f64 v[9:10], -v[7:8], v[23:24], v[9:10]
	v_fma_f64 v[11:12], v[5:6], v[23:24], v[11:12]
	global_store_b128 v[25:26], v[9:12], off
	s_branch .LBB107_7
.LBB107_24:
	s_endpgm
	.section	.rodata,"a",@progbits
	.p2align	6, 0x0
	.amdhsa_kernel _ZN9rocsparseL22bsrxmvn_general_kernelILj1024ELj32E21rocsparse_complex_numIdEllS1_IfES2_S2_EEv20rocsparse_direction_NS_24const_host_device_scalarIT1_EET3_PKS8_PKT2_SD_SA_PKT4_S8_PKT5_S7_PT6_21rocsparse_index_base_b
		.amdhsa_group_segment_fixed_size 0
		.amdhsa_private_segment_fixed_size 0
		.amdhsa_kernarg_size 120
		.amdhsa_user_sgpr_count 2
		.amdhsa_user_sgpr_dispatch_ptr 0
		.amdhsa_user_sgpr_queue_ptr 0
		.amdhsa_user_sgpr_kernarg_segment_ptr 1
		.amdhsa_user_sgpr_dispatch_id 0
		.amdhsa_user_sgpr_private_segment_size 0
		.amdhsa_wavefront_size32 1
		.amdhsa_uses_dynamic_stack 0
		.amdhsa_enable_private_segment 0
		.amdhsa_system_sgpr_workgroup_id_x 1
		.amdhsa_system_sgpr_workgroup_id_y 0
		.amdhsa_system_sgpr_workgroup_id_z 0
		.amdhsa_system_sgpr_workgroup_info 0
		.amdhsa_system_vgpr_workitem_id 0
		.amdhsa_next_free_vgpr 39
		.amdhsa_next_free_sgpr 34
		.amdhsa_reserve_vcc 1
		.amdhsa_float_round_mode_32 0
		.amdhsa_float_round_mode_16_64 0
		.amdhsa_float_denorm_mode_32 3
		.amdhsa_float_denorm_mode_16_64 3
		.amdhsa_fp16_overflow 0
		.amdhsa_workgroup_processor_mode 1
		.amdhsa_memory_ordered 1
		.amdhsa_forward_progress 1
		.amdhsa_inst_pref_size 14
		.amdhsa_round_robin_scheduling 0
		.amdhsa_exception_fp_ieee_invalid_op 0
		.amdhsa_exception_fp_denorm_src 0
		.amdhsa_exception_fp_ieee_div_zero 0
		.amdhsa_exception_fp_ieee_overflow 0
		.amdhsa_exception_fp_ieee_underflow 0
		.amdhsa_exception_fp_ieee_inexact 0
		.amdhsa_exception_int_div_zero 0
	.end_amdhsa_kernel
	.section	.text._ZN9rocsparseL22bsrxmvn_general_kernelILj1024ELj32E21rocsparse_complex_numIdEllS1_IfES2_S2_EEv20rocsparse_direction_NS_24const_host_device_scalarIT1_EET3_PKS8_PKT2_SD_SA_PKT4_S8_PKT5_S7_PT6_21rocsparse_index_base_b,"axG",@progbits,_ZN9rocsparseL22bsrxmvn_general_kernelILj1024ELj32E21rocsparse_complex_numIdEllS1_IfES2_S2_EEv20rocsparse_direction_NS_24const_host_device_scalarIT1_EET3_PKS8_PKT2_SD_SA_PKT4_S8_PKT5_S7_PT6_21rocsparse_index_base_b,comdat
.Lfunc_end107:
	.size	_ZN9rocsparseL22bsrxmvn_general_kernelILj1024ELj32E21rocsparse_complex_numIdEllS1_IfES2_S2_EEv20rocsparse_direction_NS_24const_host_device_scalarIT1_EET3_PKS8_PKT2_SD_SA_PKT4_S8_PKT5_S7_PT6_21rocsparse_index_base_b, .Lfunc_end107-_ZN9rocsparseL22bsrxmvn_general_kernelILj1024ELj32E21rocsparse_complex_numIdEllS1_IfES2_S2_EEv20rocsparse_direction_NS_24const_host_device_scalarIT1_EET3_PKS8_PKT2_SD_SA_PKT4_S8_PKT5_S7_PT6_21rocsparse_index_base_b
                                        ; -- End function
	.set _ZN9rocsparseL22bsrxmvn_general_kernelILj1024ELj32E21rocsparse_complex_numIdEllS1_IfES2_S2_EEv20rocsparse_direction_NS_24const_host_device_scalarIT1_EET3_PKS8_PKT2_SD_SA_PKT4_S8_PKT5_S7_PT6_21rocsparse_index_base_b.num_vgpr, 39
	.set _ZN9rocsparseL22bsrxmvn_general_kernelILj1024ELj32E21rocsparse_complex_numIdEllS1_IfES2_S2_EEv20rocsparse_direction_NS_24const_host_device_scalarIT1_EET3_PKS8_PKT2_SD_SA_PKT4_S8_PKT5_S7_PT6_21rocsparse_index_base_b.num_agpr, 0
	.set _ZN9rocsparseL22bsrxmvn_general_kernelILj1024ELj32E21rocsparse_complex_numIdEllS1_IfES2_S2_EEv20rocsparse_direction_NS_24const_host_device_scalarIT1_EET3_PKS8_PKT2_SD_SA_PKT4_S8_PKT5_S7_PT6_21rocsparse_index_base_b.numbered_sgpr, 34
	.set _ZN9rocsparseL22bsrxmvn_general_kernelILj1024ELj32E21rocsparse_complex_numIdEllS1_IfES2_S2_EEv20rocsparse_direction_NS_24const_host_device_scalarIT1_EET3_PKS8_PKT2_SD_SA_PKT4_S8_PKT5_S7_PT6_21rocsparse_index_base_b.num_named_barrier, 0
	.set _ZN9rocsparseL22bsrxmvn_general_kernelILj1024ELj32E21rocsparse_complex_numIdEllS1_IfES2_S2_EEv20rocsparse_direction_NS_24const_host_device_scalarIT1_EET3_PKS8_PKT2_SD_SA_PKT4_S8_PKT5_S7_PT6_21rocsparse_index_base_b.private_seg_size, 0
	.set _ZN9rocsparseL22bsrxmvn_general_kernelILj1024ELj32E21rocsparse_complex_numIdEllS1_IfES2_S2_EEv20rocsparse_direction_NS_24const_host_device_scalarIT1_EET3_PKS8_PKT2_SD_SA_PKT4_S8_PKT5_S7_PT6_21rocsparse_index_base_b.uses_vcc, 1
	.set _ZN9rocsparseL22bsrxmvn_general_kernelILj1024ELj32E21rocsparse_complex_numIdEllS1_IfES2_S2_EEv20rocsparse_direction_NS_24const_host_device_scalarIT1_EET3_PKS8_PKT2_SD_SA_PKT4_S8_PKT5_S7_PT6_21rocsparse_index_base_b.uses_flat_scratch, 0
	.set _ZN9rocsparseL22bsrxmvn_general_kernelILj1024ELj32E21rocsparse_complex_numIdEllS1_IfES2_S2_EEv20rocsparse_direction_NS_24const_host_device_scalarIT1_EET3_PKS8_PKT2_SD_SA_PKT4_S8_PKT5_S7_PT6_21rocsparse_index_base_b.has_dyn_sized_stack, 0
	.set _ZN9rocsparseL22bsrxmvn_general_kernelILj1024ELj32E21rocsparse_complex_numIdEllS1_IfES2_S2_EEv20rocsparse_direction_NS_24const_host_device_scalarIT1_EET3_PKS8_PKT2_SD_SA_PKT4_S8_PKT5_S7_PT6_21rocsparse_index_base_b.has_recursion, 0
	.set _ZN9rocsparseL22bsrxmvn_general_kernelILj1024ELj32E21rocsparse_complex_numIdEllS1_IfES2_S2_EEv20rocsparse_direction_NS_24const_host_device_scalarIT1_EET3_PKS8_PKT2_SD_SA_PKT4_S8_PKT5_S7_PT6_21rocsparse_index_base_b.has_indirect_call, 0
	.section	.AMDGPU.csdata,"",@progbits
; Kernel info:
; codeLenInByte = 1748
; TotalNumSgprs: 36
; NumVgprs: 39
; ScratchSize: 0
; MemoryBound: 0
; FloatMode: 240
; IeeeMode: 1
; LDSByteSize: 0 bytes/workgroup (compile time only)
; SGPRBlocks: 0
; VGPRBlocks: 4
; NumSGPRsForWavesPerEU: 36
; NumVGPRsForWavesPerEU: 39
; Occupancy: 16
; WaveLimiterHint : 0
; COMPUTE_PGM_RSRC2:SCRATCH_EN: 0
; COMPUTE_PGM_RSRC2:USER_SGPR: 2
; COMPUTE_PGM_RSRC2:TRAP_HANDLER: 0
; COMPUTE_PGM_RSRC2:TGID_X_EN: 1
; COMPUTE_PGM_RSRC2:TGID_Y_EN: 0
; COMPUTE_PGM_RSRC2:TGID_Z_EN: 0
; COMPUTE_PGM_RSRC2:TIDIG_COMP_CNT: 0
	.section	.AMDGPU.gpr_maximums,"",@progbits
	.set amdgpu.max_num_vgpr, 0
	.set amdgpu.max_num_agpr, 0
	.set amdgpu.max_num_sgpr, 0
	.section	.AMDGPU.csdata,"",@progbits
	.type	__hip_cuid_c6438ba3204aec4d,@object ; @__hip_cuid_c6438ba3204aec4d
	.section	.bss,"aw",@nobits
	.globl	__hip_cuid_c6438ba3204aec4d
__hip_cuid_c6438ba3204aec4d:
	.byte	0                               ; 0x0
	.size	__hip_cuid_c6438ba3204aec4d, 1

	.ident	"AMD clang version 22.0.0git (https://github.com/RadeonOpenCompute/llvm-project roc-7.2.4 26084 f58b06dce1f9c15707c5f808fd002e18c2accf7e)"
	.section	".note.GNU-stack","",@progbits
	.addrsig
	.addrsig_sym __hip_cuid_c6438ba3204aec4d
	.amdgpu_metadata
---
amdhsa.kernels:
  - .args:
      - .offset:         0
        .size:           4
        .value_kind:     by_value
      - .offset:         8
        .size:           8
        .value_kind:     by_value
      - .offset:         16
        .size:           4
        .value_kind:     by_value
      - .actual_access:  read_only
        .address_space:  global
        .offset:         24
        .size:           8
        .value_kind:     global_buffer
      - .actual_access:  read_only
        .address_space:  global
        .offset:         32
        .size:           8
        .value_kind:     global_buffer
      - .actual_access:  read_only
        .address_space:  global
        .offset:         40
        .size:           8
        .value_kind:     global_buffer
      - .actual_access:  read_only
        .address_space:  global
        .offset:         48
        .size:           8
        .value_kind:     global_buffer
      - .actual_access:  read_only
        .address_space:  global
        .offset:         56
        .size:           8
        .value_kind:     global_buffer
      - .offset:         64
        .size:           4
        .value_kind:     by_value
      - .actual_access:  read_only
        .address_space:  global
        .offset:         72
        .size:           8
        .value_kind:     global_buffer
      - .offset:         80
        .size:           8
        .value_kind:     by_value
      - .address_space:  global
        .offset:         88
        .size:           8
        .value_kind:     global_buffer
      - .offset:         96
        .size:           4
        .value_kind:     by_value
      - .offset:         100
        .size:           1
        .value_kind:     by_value
    .group_segment_fixed_size: 0
    .kernarg_segment_align: 8
    .kernarg_segment_size: 104
    .language:       OpenCL C
    .language_version:
      - 2
      - 0
    .max_flat_workgroup_size: 64
    .name:           _ZN9rocsparseL22bsrxmvn_general_kernelILj64ELj8EfiifffEEv20rocsparse_direction_NS_24const_host_device_scalarIT1_EET3_PKS5_PKT2_SA_S7_PKT4_S5_PKT5_S4_PT6_21rocsparse_index_base_b
    .private_segment_fixed_size: 0
    .sgpr_count:     34
    .sgpr_spill_count: 0
    .symbol:         _ZN9rocsparseL22bsrxmvn_general_kernelILj64ELj8EfiifffEEv20rocsparse_direction_NS_24const_host_device_scalarIT1_EET3_PKS5_PKT2_SA_S7_PKT4_S5_PKT5_S4_PT6_21rocsparse_index_base_b.kd
    .uniform_work_group_size: 1
    .uses_dynamic_stack: false
    .vgpr_count:     21
    .vgpr_spill_count: 0
    .wavefront_size: 32
    .workgroup_processor_mode: 1
  - .args:
      - .offset:         0
        .size:           4
        .value_kind:     by_value
      - .offset:         8
        .size:           8
        .value_kind:     by_value
      - .offset:         16
        .size:           4
        .value_kind:     by_value
      - .actual_access:  read_only
        .address_space:  global
        .offset:         24
        .size:           8
        .value_kind:     global_buffer
      - .actual_access:  read_only
        .address_space:  global
        .offset:         32
        .size:           8
        .value_kind:     global_buffer
      - .actual_access:  read_only
        .address_space:  global
        .offset:         40
        .size:           8
        .value_kind:     global_buffer
      - .actual_access:  read_only
        .address_space:  global
        .offset:         48
        .size:           8
        .value_kind:     global_buffer
      - .actual_access:  read_only
        .address_space:  global
        .offset:         56
        .size:           8
        .value_kind:     global_buffer
      - .offset:         64
        .size:           4
        .value_kind:     by_value
      - .actual_access:  read_only
        .address_space:  global
        .offset:         72
        .size:           8
        .value_kind:     global_buffer
      - .offset:         80
        .size:           8
        .value_kind:     by_value
      - .address_space:  global
        .offset:         88
        .size:           8
        .value_kind:     global_buffer
      - .offset:         96
        .size:           4
        .value_kind:     by_value
      - .offset:         100
        .size:           1
        .value_kind:     by_value
    .group_segment_fixed_size: 0
    .kernarg_segment_align: 8
    .kernarg_segment_size: 104
    .language:       OpenCL C
    .language_version:
      - 2
      - 0
    .max_flat_workgroup_size: 256
    .name:           _ZN9rocsparseL22bsrxmvn_general_kernelILj256ELj16EfiifffEEv20rocsparse_direction_NS_24const_host_device_scalarIT1_EET3_PKS5_PKT2_SA_S7_PKT4_S5_PKT5_S4_PT6_21rocsparse_index_base_b
    .private_segment_fixed_size: 0
    .sgpr_count:     34
    .sgpr_spill_count: 0
    .symbol:         _ZN9rocsparseL22bsrxmvn_general_kernelILj256ELj16EfiifffEEv20rocsparse_direction_NS_24const_host_device_scalarIT1_EET3_PKS5_PKT2_SA_S7_PKT4_S5_PKT5_S4_PT6_21rocsparse_index_base_b.kd
    .uniform_work_group_size: 1
    .uses_dynamic_stack: false
    .vgpr_count:     22
    .vgpr_spill_count: 0
    .wavefront_size: 32
    .workgroup_processor_mode: 1
  - .args:
      - .offset:         0
        .size:           4
        .value_kind:     by_value
      - .offset:         8
        .size:           8
        .value_kind:     by_value
      - .offset:         16
        .size:           4
        .value_kind:     by_value
      - .actual_access:  read_only
        .address_space:  global
        .offset:         24
        .size:           8
        .value_kind:     global_buffer
      - .actual_access:  read_only
        .address_space:  global
        .offset:         32
        .size:           8
        .value_kind:     global_buffer
      - .actual_access:  read_only
        .address_space:  global
        .offset:         40
        .size:           8
        .value_kind:     global_buffer
      - .actual_access:  read_only
        .address_space:  global
        .offset:         48
        .size:           8
        .value_kind:     global_buffer
      - .actual_access:  read_only
        .address_space:  global
        .offset:         56
        .size:           8
        .value_kind:     global_buffer
      - .offset:         64
        .size:           4
        .value_kind:     by_value
      - .actual_access:  read_only
        .address_space:  global
        .offset:         72
        .size:           8
        .value_kind:     global_buffer
      - .offset:         80
        .size:           8
        .value_kind:     by_value
      - .address_space:  global
        .offset:         88
        .size:           8
        .value_kind:     global_buffer
      - .offset:         96
        .size:           4
        .value_kind:     by_value
      - .offset:         100
        .size:           1
        .value_kind:     by_value
    .group_segment_fixed_size: 0
    .kernarg_segment_align: 8
    .kernarg_segment_size: 104
    .language:       OpenCL C
    .language_version:
      - 2
      - 0
    .max_flat_workgroup_size: 1024
    .name:           _ZN9rocsparseL22bsrxmvn_general_kernelILj1024ELj32EfiifffEEv20rocsparse_direction_NS_24const_host_device_scalarIT1_EET3_PKS5_PKT2_SA_S7_PKT4_S5_PKT5_S4_PT6_21rocsparse_index_base_b
    .private_segment_fixed_size: 0
    .sgpr_count:     34
    .sgpr_spill_count: 0
    .symbol:         _ZN9rocsparseL22bsrxmvn_general_kernelILj1024ELj32EfiifffEEv20rocsparse_direction_NS_24const_host_device_scalarIT1_EET3_PKS5_PKT2_SA_S7_PKT4_S5_PKT5_S4_PT6_21rocsparse_index_base_b.kd
    .uniform_work_group_size: 1
    .uses_dynamic_stack: false
    .vgpr_count:     23
    .vgpr_spill_count: 0
    .wavefront_size: 32
    .workgroup_processor_mode: 1
  - .args:
      - .offset:         0
        .size:           4
        .value_kind:     by_value
      - .offset:         8
        .size:           8
        .value_kind:     by_value
      - .offset:         16
        .size:           4
        .value_kind:     by_value
      - .actual_access:  read_only
        .address_space:  global
        .offset:         24
        .size:           8
        .value_kind:     global_buffer
      - .actual_access:  read_only
        .address_space:  global
        .offset:         32
        .size:           8
        .value_kind:     global_buffer
      - .actual_access:  read_only
        .address_space:  global
        .offset:         40
        .size:           8
        .value_kind:     global_buffer
      - .actual_access:  read_only
        .address_space:  global
        .offset:         48
        .size:           8
        .value_kind:     global_buffer
      - .actual_access:  read_only
        .address_space:  global
        .offset:         56
        .size:           8
        .value_kind:     global_buffer
      - .offset:         64
        .size:           4
        .value_kind:     by_value
      - .actual_access:  read_only
        .address_space:  global
        .offset:         72
        .size:           8
        .value_kind:     global_buffer
      - .offset:         80
        .size:           8
        .value_kind:     by_value
      - .address_space:  global
        .offset:         88
        .size:           8
        .value_kind:     global_buffer
      - .offset:         96
        .size:           4
        .value_kind:     by_value
      - .offset:         100
        .size:           1
        .value_kind:     by_value
    .group_segment_fixed_size: 0
    .kernarg_segment_align: 8
    .kernarg_segment_size: 104
    .language:       OpenCL C
    .language_version:
      - 2
      - 0
    .max_flat_workgroup_size: 64
    .name:           _ZN9rocsparseL22bsrxmvn_general_kernelILj64ELj8EdiidddEEv20rocsparse_direction_NS_24const_host_device_scalarIT1_EET3_PKS5_PKT2_SA_S7_PKT4_S5_PKT5_S4_PT6_21rocsparse_index_base_b
    .private_segment_fixed_size: 0
    .sgpr_count:     32
    .sgpr_spill_count: 0
    .symbol:         _ZN9rocsparseL22bsrxmvn_general_kernelILj64ELj8EdiidddEEv20rocsparse_direction_NS_24const_host_device_scalarIT1_EET3_PKS5_PKT2_SA_S7_PKT4_S5_PKT5_S4_PT6_21rocsparse_index_base_b.kd
    .uniform_work_group_size: 1
    .uses_dynamic_stack: false
    .vgpr_count:     26
    .vgpr_spill_count: 0
    .wavefront_size: 32
    .workgroup_processor_mode: 1
  - .args:
      - .offset:         0
        .size:           4
        .value_kind:     by_value
      - .offset:         8
        .size:           8
        .value_kind:     by_value
      - .offset:         16
        .size:           4
        .value_kind:     by_value
      - .actual_access:  read_only
        .address_space:  global
        .offset:         24
        .size:           8
        .value_kind:     global_buffer
      - .actual_access:  read_only
        .address_space:  global
        .offset:         32
        .size:           8
        .value_kind:     global_buffer
      - .actual_access:  read_only
        .address_space:  global
        .offset:         40
        .size:           8
        .value_kind:     global_buffer
      - .actual_access:  read_only
        .address_space:  global
        .offset:         48
        .size:           8
        .value_kind:     global_buffer
      - .actual_access:  read_only
        .address_space:  global
        .offset:         56
        .size:           8
        .value_kind:     global_buffer
      - .offset:         64
        .size:           4
        .value_kind:     by_value
      - .actual_access:  read_only
        .address_space:  global
        .offset:         72
        .size:           8
        .value_kind:     global_buffer
      - .offset:         80
        .size:           8
        .value_kind:     by_value
      - .address_space:  global
        .offset:         88
        .size:           8
        .value_kind:     global_buffer
      - .offset:         96
        .size:           4
        .value_kind:     by_value
      - .offset:         100
        .size:           1
        .value_kind:     by_value
    .group_segment_fixed_size: 0
    .kernarg_segment_align: 8
    .kernarg_segment_size: 104
    .language:       OpenCL C
    .language_version:
      - 2
      - 0
    .max_flat_workgroup_size: 256
    .name:           _ZN9rocsparseL22bsrxmvn_general_kernelILj256ELj16EdiidddEEv20rocsparse_direction_NS_24const_host_device_scalarIT1_EET3_PKS5_PKT2_SA_S7_PKT4_S5_PKT5_S4_PT6_21rocsparse_index_base_b
    .private_segment_fixed_size: 0
    .sgpr_count:     32
    .sgpr_spill_count: 0
    .symbol:         _ZN9rocsparseL22bsrxmvn_general_kernelILj256ELj16EdiidddEEv20rocsparse_direction_NS_24const_host_device_scalarIT1_EET3_PKS5_PKT2_SA_S7_PKT4_S5_PKT5_S4_PT6_21rocsparse_index_base_b.kd
    .uniform_work_group_size: 1
    .uses_dynamic_stack: false
    .vgpr_count:     27
    .vgpr_spill_count: 0
    .wavefront_size: 32
    .workgroup_processor_mode: 1
  - .args:
      - .offset:         0
        .size:           4
        .value_kind:     by_value
      - .offset:         8
        .size:           8
        .value_kind:     by_value
      - .offset:         16
        .size:           4
        .value_kind:     by_value
      - .actual_access:  read_only
        .address_space:  global
        .offset:         24
        .size:           8
        .value_kind:     global_buffer
      - .actual_access:  read_only
        .address_space:  global
        .offset:         32
        .size:           8
        .value_kind:     global_buffer
      - .actual_access:  read_only
        .address_space:  global
        .offset:         40
        .size:           8
        .value_kind:     global_buffer
      - .actual_access:  read_only
        .address_space:  global
        .offset:         48
        .size:           8
        .value_kind:     global_buffer
      - .actual_access:  read_only
        .address_space:  global
        .offset:         56
        .size:           8
        .value_kind:     global_buffer
      - .offset:         64
        .size:           4
        .value_kind:     by_value
      - .actual_access:  read_only
        .address_space:  global
        .offset:         72
        .size:           8
        .value_kind:     global_buffer
      - .offset:         80
        .size:           8
        .value_kind:     by_value
      - .address_space:  global
        .offset:         88
        .size:           8
        .value_kind:     global_buffer
      - .offset:         96
        .size:           4
        .value_kind:     by_value
      - .offset:         100
        .size:           1
        .value_kind:     by_value
    .group_segment_fixed_size: 0
    .kernarg_segment_align: 8
    .kernarg_segment_size: 104
    .language:       OpenCL C
    .language_version:
      - 2
      - 0
    .max_flat_workgroup_size: 1024
    .name:           _ZN9rocsparseL22bsrxmvn_general_kernelILj1024ELj32EdiidddEEv20rocsparse_direction_NS_24const_host_device_scalarIT1_EET3_PKS5_PKT2_SA_S7_PKT4_S5_PKT5_S4_PT6_21rocsparse_index_base_b
    .private_segment_fixed_size: 0
    .sgpr_count:     32
    .sgpr_spill_count: 0
    .symbol:         _ZN9rocsparseL22bsrxmvn_general_kernelILj1024ELj32EdiidddEEv20rocsparse_direction_NS_24const_host_device_scalarIT1_EET3_PKS5_PKT2_SA_S7_PKT4_S5_PKT5_S4_PT6_21rocsparse_index_base_b.kd
    .uniform_work_group_size: 1
    .uses_dynamic_stack: false
    .vgpr_count:     28
    .vgpr_spill_count: 0
    .wavefront_size: 32
    .workgroup_processor_mode: 1
  - .args:
      - .offset:         0
        .size:           4
        .value_kind:     by_value
      - .offset:         8
        .size:           8
        .value_kind:     by_value
      - .offset:         16
        .size:           4
        .value_kind:     by_value
      - .actual_access:  read_only
        .address_space:  global
        .offset:         24
        .size:           8
        .value_kind:     global_buffer
      - .actual_access:  read_only
        .address_space:  global
        .offset:         32
        .size:           8
        .value_kind:     global_buffer
      - .actual_access:  read_only
        .address_space:  global
        .offset:         40
        .size:           8
        .value_kind:     global_buffer
      - .actual_access:  read_only
        .address_space:  global
        .offset:         48
        .size:           8
        .value_kind:     global_buffer
      - .actual_access:  read_only
        .address_space:  global
        .offset:         56
        .size:           8
        .value_kind:     global_buffer
      - .offset:         64
        .size:           4
        .value_kind:     by_value
      - .actual_access:  read_only
        .address_space:  global
        .offset:         72
        .size:           8
        .value_kind:     global_buffer
      - .offset:         80
        .size:           8
        .value_kind:     by_value
      - .address_space:  global
        .offset:         88
        .size:           8
        .value_kind:     global_buffer
      - .offset:         96
        .size:           4
        .value_kind:     by_value
      - .offset:         100
        .size:           1
        .value_kind:     by_value
    .group_segment_fixed_size: 0
    .kernarg_segment_align: 8
    .kernarg_segment_size: 104
    .language:       OpenCL C
    .language_version:
      - 2
      - 0
    .max_flat_workgroup_size: 64
    .name:           _ZN9rocsparseL22bsrxmvn_general_kernelILj64ELj8E21rocsparse_complex_numIfEiiS2_S2_S2_EEv20rocsparse_direction_NS_24const_host_device_scalarIT1_EET3_PKS7_PKT2_SC_S9_PKT4_S7_PKT5_S6_PT6_21rocsparse_index_base_b
    .private_segment_fixed_size: 0
    .sgpr_count:     32
    .sgpr_spill_count: 0
    .symbol:         _ZN9rocsparseL22bsrxmvn_general_kernelILj64ELj8E21rocsparse_complex_numIfEiiS2_S2_S2_EEv20rocsparse_direction_NS_24const_host_device_scalarIT1_EET3_PKS7_PKT2_SC_S9_PKT4_S7_PKT5_S6_PT6_21rocsparse_index_base_b.kd
    .uniform_work_group_size: 1
    .uses_dynamic_stack: false
    .vgpr_count:     26
    .vgpr_spill_count: 0
    .wavefront_size: 32
    .workgroup_processor_mode: 1
  - .args:
      - .offset:         0
        .size:           4
        .value_kind:     by_value
      - .offset:         8
        .size:           8
        .value_kind:     by_value
      - .offset:         16
        .size:           4
        .value_kind:     by_value
      - .actual_access:  read_only
        .address_space:  global
        .offset:         24
        .size:           8
        .value_kind:     global_buffer
      - .actual_access:  read_only
        .address_space:  global
        .offset:         32
        .size:           8
        .value_kind:     global_buffer
      - .actual_access:  read_only
        .address_space:  global
        .offset:         40
        .size:           8
        .value_kind:     global_buffer
      - .actual_access:  read_only
        .address_space:  global
        .offset:         48
        .size:           8
        .value_kind:     global_buffer
      - .actual_access:  read_only
        .address_space:  global
        .offset:         56
        .size:           8
        .value_kind:     global_buffer
      - .offset:         64
        .size:           4
        .value_kind:     by_value
      - .actual_access:  read_only
        .address_space:  global
        .offset:         72
        .size:           8
        .value_kind:     global_buffer
      - .offset:         80
        .size:           8
        .value_kind:     by_value
      - .address_space:  global
        .offset:         88
        .size:           8
        .value_kind:     global_buffer
      - .offset:         96
        .size:           4
        .value_kind:     by_value
      - .offset:         100
        .size:           1
        .value_kind:     by_value
    .group_segment_fixed_size: 0
    .kernarg_segment_align: 8
    .kernarg_segment_size: 104
    .language:       OpenCL C
    .language_version:
      - 2
      - 0
    .max_flat_workgroup_size: 256
    .name:           _ZN9rocsparseL22bsrxmvn_general_kernelILj256ELj16E21rocsparse_complex_numIfEiiS2_S2_S2_EEv20rocsparse_direction_NS_24const_host_device_scalarIT1_EET3_PKS7_PKT2_SC_S9_PKT4_S7_PKT5_S6_PT6_21rocsparse_index_base_b
    .private_segment_fixed_size: 0
    .sgpr_count:     32
    .sgpr_spill_count: 0
    .symbol:         _ZN9rocsparseL22bsrxmvn_general_kernelILj256ELj16E21rocsparse_complex_numIfEiiS2_S2_S2_EEv20rocsparse_direction_NS_24const_host_device_scalarIT1_EET3_PKS7_PKT2_SC_S9_PKT4_S7_PKT5_S6_PT6_21rocsparse_index_base_b.kd
    .uniform_work_group_size: 1
    .uses_dynamic_stack: false
    .vgpr_count:     27
    .vgpr_spill_count: 0
    .wavefront_size: 32
    .workgroup_processor_mode: 1
  - .args:
      - .offset:         0
        .size:           4
        .value_kind:     by_value
      - .offset:         8
        .size:           8
        .value_kind:     by_value
      - .offset:         16
        .size:           4
        .value_kind:     by_value
      - .actual_access:  read_only
        .address_space:  global
        .offset:         24
        .size:           8
        .value_kind:     global_buffer
      - .actual_access:  read_only
        .address_space:  global
        .offset:         32
        .size:           8
        .value_kind:     global_buffer
      - .actual_access:  read_only
        .address_space:  global
        .offset:         40
        .size:           8
        .value_kind:     global_buffer
      - .actual_access:  read_only
        .address_space:  global
        .offset:         48
        .size:           8
        .value_kind:     global_buffer
      - .actual_access:  read_only
        .address_space:  global
        .offset:         56
        .size:           8
        .value_kind:     global_buffer
      - .offset:         64
        .size:           4
        .value_kind:     by_value
      - .actual_access:  read_only
        .address_space:  global
        .offset:         72
        .size:           8
        .value_kind:     global_buffer
      - .offset:         80
        .size:           8
        .value_kind:     by_value
      - .address_space:  global
        .offset:         88
        .size:           8
        .value_kind:     global_buffer
      - .offset:         96
        .size:           4
        .value_kind:     by_value
      - .offset:         100
        .size:           1
        .value_kind:     by_value
    .group_segment_fixed_size: 0
    .kernarg_segment_align: 8
    .kernarg_segment_size: 104
    .language:       OpenCL C
    .language_version:
      - 2
      - 0
    .max_flat_workgroup_size: 1024
    .name:           _ZN9rocsparseL22bsrxmvn_general_kernelILj1024ELj32E21rocsparse_complex_numIfEiiS2_S2_S2_EEv20rocsparse_direction_NS_24const_host_device_scalarIT1_EET3_PKS7_PKT2_SC_S9_PKT4_S7_PKT5_S6_PT6_21rocsparse_index_base_b
    .private_segment_fixed_size: 0
    .sgpr_count:     32
    .sgpr_spill_count: 0
    .symbol:         _ZN9rocsparseL22bsrxmvn_general_kernelILj1024ELj32E21rocsparse_complex_numIfEiiS2_S2_S2_EEv20rocsparse_direction_NS_24const_host_device_scalarIT1_EET3_PKS7_PKT2_SC_S9_PKT4_S7_PKT5_S6_PT6_21rocsparse_index_base_b.kd
    .uniform_work_group_size: 1
    .uses_dynamic_stack: false
    .vgpr_count:     28
    .vgpr_spill_count: 0
    .wavefront_size: 32
    .workgroup_processor_mode: 1
  - .args:
      - .offset:         0
        .size:           4
        .value_kind:     by_value
      - .offset:         8
        .size:           16
        .value_kind:     by_value
      - .offset:         24
        .size:           4
        .value_kind:     by_value
      - .actual_access:  read_only
        .address_space:  global
        .offset:         32
        .size:           8
        .value_kind:     global_buffer
      - .actual_access:  read_only
        .address_space:  global
        .offset:         40
        .size:           8
        .value_kind:     global_buffer
      - .actual_access:  read_only
        .address_space:  global
        .offset:         48
        .size:           8
        .value_kind:     global_buffer
      - .actual_access:  read_only
        .address_space:  global
        .offset:         56
        .size:           8
        .value_kind:     global_buffer
      - .actual_access:  read_only
        .address_space:  global
        .offset:         64
        .size:           8
        .value_kind:     global_buffer
      - .offset:         72
        .size:           4
        .value_kind:     by_value
      - .actual_access:  read_only
        .address_space:  global
        .offset:         80
        .size:           8
        .value_kind:     global_buffer
      - .offset:         88
        .size:           16
        .value_kind:     by_value
      - .address_space:  global
        .offset:         104
        .size:           8
        .value_kind:     global_buffer
      - .offset:         112
        .size:           4
        .value_kind:     by_value
      - .offset:         116
        .size:           1
        .value_kind:     by_value
    .group_segment_fixed_size: 0
    .kernarg_segment_align: 8
    .kernarg_segment_size: 120
    .language:       OpenCL C
    .language_version:
      - 2
      - 0
    .max_flat_workgroup_size: 64
    .name:           _ZN9rocsparseL22bsrxmvn_general_kernelILj64ELj8E21rocsparse_complex_numIdEiiS2_S2_S2_EEv20rocsparse_direction_NS_24const_host_device_scalarIT1_EET3_PKS7_PKT2_SC_S9_PKT4_S7_PKT5_S6_PT6_21rocsparse_index_base_b
    .private_segment_fixed_size: 0
    .sgpr_count:     32
    .sgpr_spill_count: 0
    .symbol:         _ZN9rocsparseL22bsrxmvn_general_kernelILj64ELj8E21rocsparse_complex_numIdEiiS2_S2_S2_EEv20rocsparse_direction_NS_24const_host_device_scalarIT1_EET3_PKS7_PKT2_SC_S9_PKT4_S7_PKT5_S6_PT6_21rocsparse_index_base_b.kd
    .uniform_work_group_size: 1
    .uses_dynamic_stack: false
    .vgpr_count:     38
    .vgpr_spill_count: 0
    .wavefront_size: 32
    .workgroup_processor_mode: 1
  - .args:
      - .offset:         0
        .size:           4
        .value_kind:     by_value
      - .offset:         8
        .size:           16
        .value_kind:     by_value
      - .offset:         24
        .size:           4
        .value_kind:     by_value
      - .actual_access:  read_only
        .address_space:  global
        .offset:         32
        .size:           8
        .value_kind:     global_buffer
      - .actual_access:  read_only
        .address_space:  global
        .offset:         40
        .size:           8
        .value_kind:     global_buffer
      - .actual_access:  read_only
        .address_space:  global
        .offset:         48
        .size:           8
        .value_kind:     global_buffer
      - .actual_access:  read_only
        .address_space:  global
        .offset:         56
        .size:           8
        .value_kind:     global_buffer
      - .actual_access:  read_only
        .address_space:  global
        .offset:         64
        .size:           8
        .value_kind:     global_buffer
      - .offset:         72
        .size:           4
        .value_kind:     by_value
      - .actual_access:  read_only
        .address_space:  global
        .offset:         80
        .size:           8
        .value_kind:     global_buffer
      - .offset:         88
        .size:           16
        .value_kind:     by_value
      - .address_space:  global
        .offset:         104
        .size:           8
        .value_kind:     global_buffer
      - .offset:         112
        .size:           4
        .value_kind:     by_value
      - .offset:         116
        .size:           1
        .value_kind:     by_value
    .group_segment_fixed_size: 0
    .kernarg_segment_align: 8
    .kernarg_segment_size: 120
    .language:       OpenCL C
    .language_version:
      - 2
      - 0
    .max_flat_workgroup_size: 256
    .name:           _ZN9rocsparseL22bsrxmvn_general_kernelILj256ELj16E21rocsparse_complex_numIdEiiS2_S2_S2_EEv20rocsparse_direction_NS_24const_host_device_scalarIT1_EET3_PKS7_PKT2_SC_S9_PKT4_S7_PKT5_S6_PT6_21rocsparse_index_base_b
    .private_segment_fixed_size: 0
    .sgpr_count:     32
    .sgpr_spill_count: 0
    .symbol:         _ZN9rocsparseL22bsrxmvn_general_kernelILj256ELj16E21rocsparse_complex_numIdEiiS2_S2_S2_EEv20rocsparse_direction_NS_24const_host_device_scalarIT1_EET3_PKS7_PKT2_SC_S9_PKT4_S7_PKT5_S6_PT6_21rocsparse_index_base_b.kd
    .uniform_work_group_size: 1
    .uses_dynamic_stack: false
    .vgpr_count:     39
    .vgpr_spill_count: 0
    .wavefront_size: 32
    .workgroup_processor_mode: 1
  - .args:
      - .offset:         0
        .size:           4
        .value_kind:     by_value
      - .offset:         8
        .size:           16
        .value_kind:     by_value
      - .offset:         24
        .size:           4
        .value_kind:     by_value
      - .actual_access:  read_only
        .address_space:  global
        .offset:         32
        .size:           8
        .value_kind:     global_buffer
      - .actual_access:  read_only
        .address_space:  global
        .offset:         40
        .size:           8
        .value_kind:     global_buffer
      - .actual_access:  read_only
        .address_space:  global
        .offset:         48
        .size:           8
        .value_kind:     global_buffer
      - .actual_access:  read_only
        .address_space:  global
        .offset:         56
        .size:           8
        .value_kind:     global_buffer
      - .actual_access:  read_only
        .address_space:  global
        .offset:         64
        .size:           8
        .value_kind:     global_buffer
      - .offset:         72
        .size:           4
        .value_kind:     by_value
      - .actual_access:  read_only
        .address_space:  global
        .offset:         80
        .size:           8
        .value_kind:     global_buffer
      - .offset:         88
        .size:           16
        .value_kind:     by_value
      - .address_space:  global
        .offset:         104
        .size:           8
        .value_kind:     global_buffer
      - .offset:         112
        .size:           4
        .value_kind:     by_value
      - .offset:         116
        .size:           1
        .value_kind:     by_value
    .group_segment_fixed_size: 0
    .kernarg_segment_align: 8
    .kernarg_segment_size: 120
    .language:       OpenCL C
    .language_version:
      - 2
      - 0
    .max_flat_workgroup_size: 1024
    .name:           _ZN9rocsparseL22bsrxmvn_general_kernelILj1024ELj32E21rocsparse_complex_numIdEiiS2_S2_S2_EEv20rocsparse_direction_NS_24const_host_device_scalarIT1_EET3_PKS7_PKT2_SC_S9_PKT4_S7_PKT5_S6_PT6_21rocsparse_index_base_b
    .private_segment_fixed_size: 0
    .sgpr_count:     32
    .sgpr_spill_count: 0
    .symbol:         _ZN9rocsparseL22bsrxmvn_general_kernelILj1024ELj32E21rocsparse_complex_numIdEiiS2_S2_S2_EEv20rocsparse_direction_NS_24const_host_device_scalarIT1_EET3_PKS7_PKT2_SC_S9_PKT4_S7_PKT5_S6_PT6_21rocsparse_index_base_b.kd
    .uniform_work_group_size: 1
    .uses_dynamic_stack: false
    .vgpr_count:     40
    .vgpr_spill_count: 0
    .wavefront_size: 32
    .workgroup_processor_mode: 1
  - .args:
      - .offset:         0
        .size:           4
        .value_kind:     by_value
      - .offset:         8
        .size:           8
        .value_kind:     by_value
      - .offset:         16
        .size:           4
        .value_kind:     by_value
      - .actual_access:  read_only
        .address_space:  global
        .offset:         24
        .size:           8
        .value_kind:     global_buffer
      - .actual_access:  read_only
        .address_space:  global
        .offset:         32
        .size:           8
        .value_kind:     global_buffer
      - .actual_access:  read_only
        .address_space:  global
        .offset:         40
        .size:           8
        .value_kind:     global_buffer
      - .actual_access:  read_only
        .address_space:  global
        .offset:         48
        .size:           8
        .value_kind:     global_buffer
      - .actual_access:  read_only
        .address_space:  global
        .offset:         56
        .size:           8
        .value_kind:     global_buffer
      - .offset:         64
        .size:           4
        .value_kind:     by_value
      - .actual_access:  read_only
        .address_space:  global
        .offset:         72
        .size:           8
        .value_kind:     global_buffer
      - .offset:         80
        .size:           8
        .value_kind:     by_value
      - .address_space:  global
        .offset:         88
        .size:           8
        .value_kind:     global_buffer
      - .offset:         96
        .size:           4
        .value_kind:     by_value
      - .offset:         100
        .size:           1
        .value_kind:     by_value
    .group_segment_fixed_size: 0
    .kernarg_segment_align: 8
    .kernarg_segment_size: 104
    .language:       OpenCL C
    .language_version:
      - 2
      - 0
    .max_flat_workgroup_size: 64
    .name:           _ZN9rocsparseL22bsrxmvn_general_kernelILj64ELj8EflifffEEv20rocsparse_direction_NS_24const_host_device_scalarIT1_EET3_PKS5_PKT2_SA_S7_PKT4_S5_PKT5_S4_PT6_21rocsparse_index_base_b
    .private_segment_fixed_size: 0
    .sgpr_count:     38
    .sgpr_spill_count: 0
    .symbol:         _ZN9rocsparseL22bsrxmvn_general_kernelILj64ELj8EflifffEEv20rocsparse_direction_NS_24const_host_device_scalarIT1_EET3_PKS5_PKT2_SA_S7_PKT4_S5_PKT5_S4_PT6_21rocsparse_index_base_b.kd
    .uniform_work_group_size: 1
    .uses_dynamic_stack: false
    .vgpr_count:     21
    .vgpr_spill_count: 0
    .wavefront_size: 32
    .workgroup_processor_mode: 1
  - .args:
      - .offset:         0
        .size:           4
        .value_kind:     by_value
      - .offset:         8
        .size:           8
        .value_kind:     by_value
      - .offset:         16
        .size:           4
        .value_kind:     by_value
      - .actual_access:  read_only
        .address_space:  global
        .offset:         24
        .size:           8
        .value_kind:     global_buffer
      - .actual_access:  read_only
        .address_space:  global
        .offset:         32
        .size:           8
        .value_kind:     global_buffer
      - .actual_access:  read_only
        .address_space:  global
        .offset:         40
        .size:           8
        .value_kind:     global_buffer
      - .actual_access:  read_only
        .address_space:  global
        .offset:         48
        .size:           8
        .value_kind:     global_buffer
      - .actual_access:  read_only
        .address_space:  global
        .offset:         56
        .size:           8
        .value_kind:     global_buffer
      - .offset:         64
        .size:           4
        .value_kind:     by_value
      - .actual_access:  read_only
        .address_space:  global
        .offset:         72
        .size:           8
        .value_kind:     global_buffer
      - .offset:         80
        .size:           8
        .value_kind:     by_value
      - .address_space:  global
        .offset:         88
        .size:           8
        .value_kind:     global_buffer
      - .offset:         96
        .size:           4
        .value_kind:     by_value
      - .offset:         100
        .size:           1
        .value_kind:     by_value
    .group_segment_fixed_size: 0
    .kernarg_segment_align: 8
    .kernarg_segment_size: 104
    .language:       OpenCL C
    .language_version:
      - 2
      - 0
    .max_flat_workgroup_size: 256
    .name:           _ZN9rocsparseL22bsrxmvn_general_kernelILj256ELj16EflifffEEv20rocsparse_direction_NS_24const_host_device_scalarIT1_EET3_PKS5_PKT2_SA_S7_PKT4_S5_PKT5_S4_PT6_21rocsparse_index_base_b
    .private_segment_fixed_size: 0
    .sgpr_count:     38
    .sgpr_spill_count: 0
    .symbol:         _ZN9rocsparseL22bsrxmvn_general_kernelILj256ELj16EflifffEEv20rocsparse_direction_NS_24const_host_device_scalarIT1_EET3_PKS5_PKT2_SA_S7_PKT4_S5_PKT5_S4_PT6_21rocsparse_index_base_b.kd
    .uniform_work_group_size: 1
    .uses_dynamic_stack: false
    .vgpr_count:     22
    .vgpr_spill_count: 0
    .wavefront_size: 32
    .workgroup_processor_mode: 1
  - .args:
      - .offset:         0
        .size:           4
        .value_kind:     by_value
      - .offset:         8
        .size:           8
        .value_kind:     by_value
      - .offset:         16
        .size:           4
        .value_kind:     by_value
      - .actual_access:  read_only
        .address_space:  global
        .offset:         24
        .size:           8
        .value_kind:     global_buffer
      - .actual_access:  read_only
        .address_space:  global
        .offset:         32
        .size:           8
        .value_kind:     global_buffer
      - .actual_access:  read_only
        .address_space:  global
        .offset:         40
        .size:           8
        .value_kind:     global_buffer
      - .actual_access:  read_only
        .address_space:  global
        .offset:         48
        .size:           8
        .value_kind:     global_buffer
      - .actual_access:  read_only
        .address_space:  global
        .offset:         56
        .size:           8
        .value_kind:     global_buffer
      - .offset:         64
        .size:           4
        .value_kind:     by_value
      - .actual_access:  read_only
        .address_space:  global
        .offset:         72
        .size:           8
        .value_kind:     global_buffer
      - .offset:         80
        .size:           8
        .value_kind:     by_value
      - .address_space:  global
        .offset:         88
        .size:           8
        .value_kind:     global_buffer
      - .offset:         96
        .size:           4
        .value_kind:     by_value
      - .offset:         100
        .size:           1
        .value_kind:     by_value
    .group_segment_fixed_size: 0
    .kernarg_segment_align: 8
    .kernarg_segment_size: 104
    .language:       OpenCL C
    .language_version:
      - 2
      - 0
    .max_flat_workgroup_size: 1024
    .name:           _ZN9rocsparseL22bsrxmvn_general_kernelILj1024ELj32EflifffEEv20rocsparse_direction_NS_24const_host_device_scalarIT1_EET3_PKS5_PKT2_SA_S7_PKT4_S5_PKT5_S4_PT6_21rocsparse_index_base_b
    .private_segment_fixed_size: 0
    .sgpr_count:     38
    .sgpr_spill_count: 0
    .symbol:         _ZN9rocsparseL22bsrxmvn_general_kernelILj1024ELj32EflifffEEv20rocsparse_direction_NS_24const_host_device_scalarIT1_EET3_PKS5_PKT2_SA_S7_PKT4_S5_PKT5_S4_PT6_21rocsparse_index_base_b.kd
    .uniform_work_group_size: 1
    .uses_dynamic_stack: false
    .vgpr_count:     23
    .vgpr_spill_count: 0
    .wavefront_size: 32
    .workgroup_processor_mode: 1
  - .args:
      - .offset:         0
        .size:           4
        .value_kind:     by_value
      - .offset:         8
        .size:           8
        .value_kind:     by_value
      - .offset:         16
        .size:           4
        .value_kind:     by_value
      - .actual_access:  read_only
        .address_space:  global
        .offset:         24
        .size:           8
        .value_kind:     global_buffer
      - .actual_access:  read_only
        .address_space:  global
        .offset:         32
        .size:           8
        .value_kind:     global_buffer
      - .actual_access:  read_only
        .address_space:  global
        .offset:         40
        .size:           8
        .value_kind:     global_buffer
      - .actual_access:  read_only
        .address_space:  global
        .offset:         48
        .size:           8
        .value_kind:     global_buffer
      - .actual_access:  read_only
        .address_space:  global
        .offset:         56
        .size:           8
        .value_kind:     global_buffer
      - .offset:         64
        .size:           4
        .value_kind:     by_value
      - .actual_access:  read_only
        .address_space:  global
        .offset:         72
        .size:           8
        .value_kind:     global_buffer
      - .offset:         80
        .size:           8
        .value_kind:     by_value
      - .address_space:  global
        .offset:         88
        .size:           8
        .value_kind:     global_buffer
      - .offset:         96
        .size:           4
        .value_kind:     by_value
      - .offset:         100
        .size:           1
        .value_kind:     by_value
    .group_segment_fixed_size: 0
    .kernarg_segment_align: 8
    .kernarg_segment_size: 104
    .language:       OpenCL C
    .language_version:
      - 2
      - 0
    .max_flat_workgroup_size: 64
    .name:           _ZN9rocsparseL22bsrxmvn_general_kernelILj64ELj8EdlidddEEv20rocsparse_direction_NS_24const_host_device_scalarIT1_EET3_PKS5_PKT2_SA_S7_PKT4_S5_PKT5_S4_PT6_21rocsparse_index_base_b
    .private_segment_fixed_size: 0
    .sgpr_count:     34
    .sgpr_spill_count: 0
    .symbol:         _ZN9rocsparseL22bsrxmvn_general_kernelILj64ELj8EdlidddEEv20rocsparse_direction_NS_24const_host_device_scalarIT1_EET3_PKS5_PKT2_SA_S7_PKT4_S5_PKT5_S4_PT6_21rocsparse_index_base_b.kd
    .uniform_work_group_size: 1
    .uses_dynamic_stack: false
    .vgpr_count:     26
    .vgpr_spill_count: 0
    .wavefront_size: 32
    .workgroup_processor_mode: 1
  - .args:
      - .offset:         0
        .size:           4
        .value_kind:     by_value
      - .offset:         8
        .size:           8
        .value_kind:     by_value
      - .offset:         16
        .size:           4
        .value_kind:     by_value
      - .actual_access:  read_only
        .address_space:  global
        .offset:         24
        .size:           8
        .value_kind:     global_buffer
      - .actual_access:  read_only
        .address_space:  global
        .offset:         32
        .size:           8
        .value_kind:     global_buffer
      - .actual_access:  read_only
        .address_space:  global
        .offset:         40
        .size:           8
        .value_kind:     global_buffer
      - .actual_access:  read_only
        .address_space:  global
        .offset:         48
        .size:           8
        .value_kind:     global_buffer
      - .actual_access:  read_only
        .address_space:  global
        .offset:         56
        .size:           8
        .value_kind:     global_buffer
      - .offset:         64
        .size:           4
        .value_kind:     by_value
      - .actual_access:  read_only
        .address_space:  global
        .offset:         72
        .size:           8
        .value_kind:     global_buffer
      - .offset:         80
        .size:           8
        .value_kind:     by_value
      - .address_space:  global
        .offset:         88
        .size:           8
        .value_kind:     global_buffer
      - .offset:         96
        .size:           4
        .value_kind:     by_value
      - .offset:         100
        .size:           1
        .value_kind:     by_value
    .group_segment_fixed_size: 0
    .kernarg_segment_align: 8
    .kernarg_segment_size: 104
    .language:       OpenCL C
    .language_version:
      - 2
      - 0
    .max_flat_workgroup_size: 256
    .name:           _ZN9rocsparseL22bsrxmvn_general_kernelILj256ELj16EdlidddEEv20rocsparse_direction_NS_24const_host_device_scalarIT1_EET3_PKS5_PKT2_SA_S7_PKT4_S5_PKT5_S4_PT6_21rocsparse_index_base_b
    .private_segment_fixed_size: 0
    .sgpr_count:     34
    .sgpr_spill_count: 0
    .symbol:         _ZN9rocsparseL22bsrxmvn_general_kernelILj256ELj16EdlidddEEv20rocsparse_direction_NS_24const_host_device_scalarIT1_EET3_PKS5_PKT2_SA_S7_PKT4_S5_PKT5_S4_PT6_21rocsparse_index_base_b.kd
    .uniform_work_group_size: 1
    .uses_dynamic_stack: false
    .vgpr_count:     27
    .vgpr_spill_count: 0
    .wavefront_size: 32
    .workgroup_processor_mode: 1
  - .args:
      - .offset:         0
        .size:           4
        .value_kind:     by_value
      - .offset:         8
        .size:           8
        .value_kind:     by_value
      - .offset:         16
        .size:           4
        .value_kind:     by_value
      - .actual_access:  read_only
        .address_space:  global
        .offset:         24
        .size:           8
        .value_kind:     global_buffer
      - .actual_access:  read_only
        .address_space:  global
        .offset:         32
        .size:           8
        .value_kind:     global_buffer
      - .actual_access:  read_only
        .address_space:  global
        .offset:         40
        .size:           8
        .value_kind:     global_buffer
      - .actual_access:  read_only
        .address_space:  global
        .offset:         48
        .size:           8
        .value_kind:     global_buffer
      - .actual_access:  read_only
        .address_space:  global
        .offset:         56
        .size:           8
        .value_kind:     global_buffer
      - .offset:         64
        .size:           4
        .value_kind:     by_value
      - .actual_access:  read_only
        .address_space:  global
        .offset:         72
        .size:           8
        .value_kind:     global_buffer
      - .offset:         80
        .size:           8
        .value_kind:     by_value
      - .address_space:  global
        .offset:         88
        .size:           8
        .value_kind:     global_buffer
      - .offset:         96
        .size:           4
        .value_kind:     by_value
      - .offset:         100
        .size:           1
        .value_kind:     by_value
    .group_segment_fixed_size: 0
    .kernarg_segment_align: 8
    .kernarg_segment_size: 104
    .language:       OpenCL C
    .language_version:
      - 2
      - 0
    .max_flat_workgroup_size: 1024
    .name:           _ZN9rocsparseL22bsrxmvn_general_kernelILj1024ELj32EdlidddEEv20rocsparse_direction_NS_24const_host_device_scalarIT1_EET3_PKS5_PKT2_SA_S7_PKT4_S5_PKT5_S4_PT6_21rocsparse_index_base_b
    .private_segment_fixed_size: 0
    .sgpr_count:     34
    .sgpr_spill_count: 0
    .symbol:         _ZN9rocsparseL22bsrxmvn_general_kernelILj1024ELj32EdlidddEEv20rocsparse_direction_NS_24const_host_device_scalarIT1_EET3_PKS5_PKT2_SA_S7_PKT4_S5_PKT5_S4_PT6_21rocsparse_index_base_b.kd
    .uniform_work_group_size: 1
    .uses_dynamic_stack: false
    .vgpr_count:     28
    .vgpr_spill_count: 0
    .wavefront_size: 32
    .workgroup_processor_mode: 1
  - .args:
      - .offset:         0
        .size:           4
        .value_kind:     by_value
      - .offset:         8
        .size:           8
        .value_kind:     by_value
      - .offset:         16
        .size:           4
        .value_kind:     by_value
      - .actual_access:  read_only
        .address_space:  global
        .offset:         24
        .size:           8
        .value_kind:     global_buffer
      - .actual_access:  read_only
        .address_space:  global
        .offset:         32
        .size:           8
        .value_kind:     global_buffer
      - .actual_access:  read_only
        .address_space:  global
        .offset:         40
        .size:           8
        .value_kind:     global_buffer
      - .actual_access:  read_only
        .address_space:  global
        .offset:         48
        .size:           8
        .value_kind:     global_buffer
      - .actual_access:  read_only
        .address_space:  global
        .offset:         56
        .size:           8
        .value_kind:     global_buffer
      - .offset:         64
        .size:           4
        .value_kind:     by_value
      - .actual_access:  read_only
        .address_space:  global
        .offset:         72
        .size:           8
        .value_kind:     global_buffer
      - .offset:         80
        .size:           8
        .value_kind:     by_value
      - .address_space:  global
        .offset:         88
        .size:           8
        .value_kind:     global_buffer
      - .offset:         96
        .size:           4
        .value_kind:     by_value
      - .offset:         100
        .size:           1
        .value_kind:     by_value
    .group_segment_fixed_size: 0
    .kernarg_segment_align: 8
    .kernarg_segment_size: 104
    .language:       OpenCL C
    .language_version:
      - 2
      - 0
    .max_flat_workgroup_size: 64
    .name:           _ZN9rocsparseL22bsrxmvn_general_kernelILj64ELj8E21rocsparse_complex_numIfEliS2_S2_S2_EEv20rocsparse_direction_NS_24const_host_device_scalarIT1_EET3_PKS7_PKT2_SC_S9_PKT4_S7_PKT5_S6_PT6_21rocsparse_index_base_b
    .private_segment_fixed_size: 0
    .sgpr_count:     34
    .sgpr_spill_count: 0
    .symbol:         _ZN9rocsparseL22bsrxmvn_general_kernelILj64ELj8E21rocsparse_complex_numIfEliS2_S2_S2_EEv20rocsparse_direction_NS_24const_host_device_scalarIT1_EET3_PKS7_PKT2_SC_S9_PKT4_S7_PKT5_S6_PT6_21rocsparse_index_base_b.kd
    .uniform_work_group_size: 1
    .uses_dynamic_stack: false
    .vgpr_count:     26
    .vgpr_spill_count: 0
    .wavefront_size: 32
    .workgroup_processor_mode: 1
  - .args:
      - .offset:         0
        .size:           4
        .value_kind:     by_value
      - .offset:         8
        .size:           8
        .value_kind:     by_value
      - .offset:         16
        .size:           4
        .value_kind:     by_value
      - .actual_access:  read_only
        .address_space:  global
        .offset:         24
        .size:           8
        .value_kind:     global_buffer
      - .actual_access:  read_only
        .address_space:  global
        .offset:         32
        .size:           8
        .value_kind:     global_buffer
      - .actual_access:  read_only
        .address_space:  global
        .offset:         40
        .size:           8
        .value_kind:     global_buffer
      - .actual_access:  read_only
        .address_space:  global
        .offset:         48
        .size:           8
        .value_kind:     global_buffer
      - .actual_access:  read_only
        .address_space:  global
        .offset:         56
        .size:           8
        .value_kind:     global_buffer
      - .offset:         64
        .size:           4
        .value_kind:     by_value
      - .actual_access:  read_only
        .address_space:  global
        .offset:         72
        .size:           8
        .value_kind:     global_buffer
      - .offset:         80
        .size:           8
        .value_kind:     by_value
      - .address_space:  global
        .offset:         88
        .size:           8
        .value_kind:     global_buffer
      - .offset:         96
        .size:           4
        .value_kind:     by_value
      - .offset:         100
        .size:           1
        .value_kind:     by_value
    .group_segment_fixed_size: 0
    .kernarg_segment_align: 8
    .kernarg_segment_size: 104
    .language:       OpenCL C
    .language_version:
      - 2
      - 0
    .max_flat_workgroup_size: 256
    .name:           _ZN9rocsparseL22bsrxmvn_general_kernelILj256ELj16E21rocsparse_complex_numIfEliS2_S2_S2_EEv20rocsparse_direction_NS_24const_host_device_scalarIT1_EET3_PKS7_PKT2_SC_S9_PKT4_S7_PKT5_S6_PT6_21rocsparse_index_base_b
    .private_segment_fixed_size: 0
    .sgpr_count:     34
    .sgpr_spill_count: 0
    .symbol:         _ZN9rocsparseL22bsrxmvn_general_kernelILj256ELj16E21rocsparse_complex_numIfEliS2_S2_S2_EEv20rocsparse_direction_NS_24const_host_device_scalarIT1_EET3_PKS7_PKT2_SC_S9_PKT4_S7_PKT5_S6_PT6_21rocsparse_index_base_b.kd
    .uniform_work_group_size: 1
    .uses_dynamic_stack: false
    .vgpr_count:     27
    .vgpr_spill_count: 0
    .wavefront_size: 32
    .workgroup_processor_mode: 1
  - .args:
      - .offset:         0
        .size:           4
        .value_kind:     by_value
      - .offset:         8
        .size:           8
        .value_kind:     by_value
      - .offset:         16
        .size:           4
        .value_kind:     by_value
      - .actual_access:  read_only
        .address_space:  global
        .offset:         24
        .size:           8
        .value_kind:     global_buffer
      - .actual_access:  read_only
        .address_space:  global
        .offset:         32
        .size:           8
        .value_kind:     global_buffer
      - .actual_access:  read_only
        .address_space:  global
        .offset:         40
        .size:           8
        .value_kind:     global_buffer
      - .actual_access:  read_only
        .address_space:  global
        .offset:         48
        .size:           8
        .value_kind:     global_buffer
      - .actual_access:  read_only
        .address_space:  global
        .offset:         56
        .size:           8
        .value_kind:     global_buffer
      - .offset:         64
        .size:           4
        .value_kind:     by_value
      - .actual_access:  read_only
        .address_space:  global
        .offset:         72
        .size:           8
        .value_kind:     global_buffer
      - .offset:         80
        .size:           8
        .value_kind:     by_value
      - .address_space:  global
        .offset:         88
        .size:           8
        .value_kind:     global_buffer
      - .offset:         96
        .size:           4
        .value_kind:     by_value
      - .offset:         100
        .size:           1
        .value_kind:     by_value
    .group_segment_fixed_size: 0
    .kernarg_segment_align: 8
    .kernarg_segment_size: 104
    .language:       OpenCL C
    .language_version:
      - 2
      - 0
    .max_flat_workgroup_size: 1024
    .name:           _ZN9rocsparseL22bsrxmvn_general_kernelILj1024ELj32E21rocsparse_complex_numIfEliS2_S2_S2_EEv20rocsparse_direction_NS_24const_host_device_scalarIT1_EET3_PKS7_PKT2_SC_S9_PKT4_S7_PKT5_S6_PT6_21rocsparse_index_base_b
    .private_segment_fixed_size: 0
    .sgpr_count:     34
    .sgpr_spill_count: 0
    .symbol:         _ZN9rocsparseL22bsrxmvn_general_kernelILj1024ELj32E21rocsparse_complex_numIfEliS2_S2_S2_EEv20rocsparse_direction_NS_24const_host_device_scalarIT1_EET3_PKS7_PKT2_SC_S9_PKT4_S7_PKT5_S6_PT6_21rocsparse_index_base_b.kd
    .uniform_work_group_size: 1
    .uses_dynamic_stack: false
    .vgpr_count:     28
    .vgpr_spill_count: 0
    .wavefront_size: 32
    .workgroup_processor_mode: 1
  - .args:
      - .offset:         0
        .size:           4
        .value_kind:     by_value
      - .offset:         8
        .size:           16
        .value_kind:     by_value
      - .offset:         24
        .size:           4
        .value_kind:     by_value
      - .actual_access:  read_only
        .address_space:  global
        .offset:         32
        .size:           8
        .value_kind:     global_buffer
      - .actual_access:  read_only
        .address_space:  global
        .offset:         40
        .size:           8
        .value_kind:     global_buffer
      - .actual_access:  read_only
        .address_space:  global
        .offset:         48
        .size:           8
        .value_kind:     global_buffer
      - .actual_access:  read_only
        .address_space:  global
        .offset:         56
        .size:           8
        .value_kind:     global_buffer
      - .actual_access:  read_only
        .address_space:  global
        .offset:         64
        .size:           8
        .value_kind:     global_buffer
      - .offset:         72
        .size:           4
        .value_kind:     by_value
      - .actual_access:  read_only
        .address_space:  global
        .offset:         80
        .size:           8
        .value_kind:     global_buffer
      - .offset:         88
        .size:           16
        .value_kind:     by_value
      - .address_space:  global
        .offset:         104
        .size:           8
        .value_kind:     global_buffer
      - .offset:         112
        .size:           4
        .value_kind:     by_value
      - .offset:         116
        .size:           1
        .value_kind:     by_value
    .group_segment_fixed_size: 0
    .kernarg_segment_align: 8
    .kernarg_segment_size: 120
    .language:       OpenCL C
    .language_version:
      - 2
      - 0
    .max_flat_workgroup_size: 64
    .name:           _ZN9rocsparseL22bsrxmvn_general_kernelILj64ELj8E21rocsparse_complex_numIdEliS2_S2_S2_EEv20rocsparse_direction_NS_24const_host_device_scalarIT1_EET3_PKS7_PKT2_SC_S9_PKT4_S7_PKT5_S6_PT6_21rocsparse_index_base_b
    .private_segment_fixed_size: 0
    .sgpr_count:     34
    .sgpr_spill_count: 0
    .symbol:         _ZN9rocsparseL22bsrxmvn_general_kernelILj64ELj8E21rocsparse_complex_numIdEliS2_S2_S2_EEv20rocsparse_direction_NS_24const_host_device_scalarIT1_EET3_PKS7_PKT2_SC_S9_PKT4_S7_PKT5_S6_PT6_21rocsparse_index_base_b.kd
    .uniform_work_group_size: 1
    .uses_dynamic_stack: false
    .vgpr_count:     38
    .vgpr_spill_count: 0
    .wavefront_size: 32
    .workgroup_processor_mode: 1
  - .args:
      - .offset:         0
        .size:           4
        .value_kind:     by_value
      - .offset:         8
        .size:           16
        .value_kind:     by_value
      - .offset:         24
        .size:           4
        .value_kind:     by_value
      - .actual_access:  read_only
        .address_space:  global
        .offset:         32
        .size:           8
        .value_kind:     global_buffer
      - .actual_access:  read_only
        .address_space:  global
        .offset:         40
        .size:           8
        .value_kind:     global_buffer
      - .actual_access:  read_only
        .address_space:  global
        .offset:         48
        .size:           8
        .value_kind:     global_buffer
      - .actual_access:  read_only
        .address_space:  global
        .offset:         56
        .size:           8
        .value_kind:     global_buffer
      - .actual_access:  read_only
        .address_space:  global
        .offset:         64
        .size:           8
        .value_kind:     global_buffer
      - .offset:         72
        .size:           4
        .value_kind:     by_value
      - .actual_access:  read_only
        .address_space:  global
        .offset:         80
        .size:           8
        .value_kind:     global_buffer
      - .offset:         88
        .size:           16
        .value_kind:     by_value
      - .address_space:  global
        .offset:         104
        .size:           8
        .value_kind:     global_buffer
      - .offset:         112
        .size:           4
        .value_kind:     by_value
      - .offset:         116
        .size:           1
        .value_kind:     by_value
    .group_segment_fixed_size: 0
    .kernarg_segment_align: 8
    .kernarg_segment_size: 120
    .language:       OpenCL C
    .language_version:
      - 2
      - 0
    .max_flat_workgroup_size: 256
    .name:           _ZN9rocsparseL22bsrxmvn_general_kernelILj256ELj16E21rocsparse_complex_numIdEliS2_S2_S2_EEv20rocsparse_direction_NS_24const_host_device_scalarIT1_EET3_PKS7_PKT2_SC_S9_PKT4_S7_PKT5_S6_PT6_21rocsparse_index_base_b
    .private_segment_fixed_size: 0
    .sgpr_count:     34
    .sgpr_spill_count: 0
    .symbol:         _ZN9rocsparseL22bsrxmvn_general_kernelILj256ELj16E21rocsparse_complex_numIdEliS2_S2_S2_EEv20rocsparse_direction_NS_24const_host_device_scalarIT1_EET3_PKS7_PKT2_SC_S9_PKT4_S7_PKT5_S6_PT6_21rocsparse_index_base_b.kd
    .uniform_work_group_size: 1
    .uses_dynamic_stack: false
    .vgpr_count:     39
    .vgpr_spill_count: 0
    .wavefront_size: 32
    .workgroup_processor_mode: 1
  - .args:
      - .offset:         0
        .size:           4
        .value_kind:     by_value
      - .offset:         8
        .size:           16
        .value_kind:     by_value
      - .offset:         24
        .size:           4
        .value_kind:     by_value
      - .actual_access:  read_only
        .address_space:  global
        .offset:         32
        .size:           8
        .value_kind:     global_buffer
      - .actual_access:  read_only
        .address_space:  global
        .offset:         40
        .size:           8
        .value_kind:     global_buffer
      - .actual_access:  read_only
        .address_space:  global
        .offset:         48
        .size:           8
        .value_kind:     global_buffer
      - .actual_access:  read_only
        .address_space:  global
        .offset:         56
        .size:           8
        .value_kind:     global_buffer
      - .actual_access:  read_only
        .address_space:  global
        .offset:         64
        .size:           8
        .value_kind:     global_buffer
      - .offset:         72
        .size:           4
        .value_kind:     by_value
      - .actual_access:  read_only
        .address_space:  global
        .offset:         80
        .size:           8
        .value_kind:     global_buffer
      - .offset:         88
        .size:           16
        .value_kind:     by_value
      - .address_space:  global
        .offset:         104
        .size:           8
        .value_kind:     global_buffer
      - .offset:         112
        .size:           4
        .value_kind:     by_value
      - .offset:         116
        .size:           1
        .value_kind:     by_value
    .group_segment_fixed_size: 0
    .kernarg_segment_align: 8
    .kernarg_segment_size: 120
    .language:       OpenCL C
    .language_version:
      - 2
      - 0
    .max_flat_workgroup_size: 1024
    .name:           _ZN9rocsparseL22bsrxmvn_general_kernelILj1024ELj32E21rocsparse_complex_numIdEliS2_S2_S2_EEv20rocsparse_direction_NS_24const_host_device_scalarIT1_EET3_PKS7_PKT2_SC_S9_PKT4_S7_PKT5_S6_PT6_21rocsparse_index_base_b
    .private_segment_fixed_size: 0
    .sgpr_count:     34
    .sgpr_spill_count: 0
    .symbol:         _ZN9rocsparseL22bsrxmvn_general_kernelILj1024ELj32E21rocsparse_complex_numIdEliS2_S2_S2_EEv20rocsparse_direction_NS_24const_host_device_scalarIT1_EET3_PKS7_PKT2_SC_S9_PKT4_S7_PKT5_S6_PT6_21rocsparse_index_base_b.kd
    .uniform_work_group_size: 1
    .uses_dynamic_stack: false
    .vgpr_count:     40
    .vgpr_spill_count: 0
    .wavefront_size: 32
    .workgroup_processor_mode: 1
  - .args:
      - .offset:         0
        .size:           4
        .value_kind:     by_value
      - .offset:         8
        .size:           8
        .value_kind:     by_value
      - .offset:         16
        .size:           8
        .value_kind:     by_value
      - .actual_access:  read_only
        .address_space:  global
        .offset:         24
        .size:           8
        .value_kind:     global_buffer
      - .actual_access:  read_only
        .address_space:  global
        .offset:         32
        .size:           8
        .value_kind:     global_buffer
      - .actual_access:  read_only
        .address_space:  global
        .offset:         40
        .size:           8
        .value_kind:     global_buffer
      - .actual_access:  read_only
        .address_space:  global
        .offset:         48
        .size:           8
        .value_kind:     global_buffer
      - .actual_access:  read_only
        .address_space:  global
        .offset:         56
        .size:           8
        .value_kind:     global_buffer
      - .offset:         64
        .size:           8
        .value_kind:     by_value
      - .actual_access:  read_only
        .address_space:  global
        .offset:         72
        .size:           8
        .value_kind:     global_buffer
      - .offset:         80
        .size:           8
        .value_kind:     by_value
      - .address_space:  global
        .offset:         88
        .size:           8
        .value_kind:     global_buffer
      - .offset:         96
        .size:           4
        .value_kind:     by_value
      - .offset:         100
        .size:           1
        .value_kind:     by_value
    .group_segment_fixed_size: 0
    .kernarg_segment_align: 8
    .kernarg_segment_size: 104
    .language:       OpenCL C
    .language_version:
      - 2
      - 0
    .max_flat_workgroup_size: 64
    .name:           _ZN9rocsparseL22bsrxmvn_general_kernelILj64ELj8EfllfffEEv20rocsparse_direction_NS_24const_host_device_scalarIT1_EET3_PKS5_PKT2_SA_S7_PKT4_S5_PKT5_S4_PT6_21rocsparse_index_base_b
    .private_segment_fixed_size: 0
    .sgpr_count:     38
    .sgpr_spill_count: 0
    .symbol:         _ZN9rocsparseL22bsrxmvn_general_kernelILj64ELj8EfllfffEEv20rocsparse_direction_NS_24const_host_device_scalarIT1_EET3_PKS5_PKT2_SA_S7_PKT4_S5_PKT5_S4_PT6_21rocsparse_index_base_b.kd
    .uniform_work_group_size: 1
    .uses_dynamic_stack: false
    .vgpr_count:     22
    .vgpr_spill_count: 0
    .wavefront_size: 32
    .workgroup_processor_mode: 1
  - .args:
      - .offset:         0
        .size:           4
        .value_kind:     by_value
      - .offset:         8
        .size:           8
        .value_kind:     by_value
      - .offset:         16
        .size:           8
        .value_kind:     by_value
      - .actual_access:  read_only
        .address_space:  global
        .offset:         24
        .size:           8
        .value_kind:     global_buffer
      - .actual_access:  read_only
        .address_space:  global
        .offset:         32
        .size:           8
        .value_kind:     global_buffer
      - .actual_access:  read_only
        .address_space:  global
        .offset:         40
        .size:           8
        .value_kind:     global_buffer
      - .actual_access:  read_only
        .address_space:  global
        .offset:         48
        .size:           8
        .value_kind:     global_buffer
      - .actual_access:  read_only
        .address_space:  global
        .offset:         56
        .size:           8
        .value_kind:     global_buffer
      - .offset:         64
        .size:           8
        .value_kind:     by_value
      - .actual_access:  read_only
        .address_space:  global
        .offset:         72
        .size:           8
        .value_kind:     global_buffer
      - .offset:         80
        .size:           8
        .value_kind:     by_value
      - .address_space:  global
        .offset:         88
        .size:           8
        .value_kind:     global_buffer
      - .offset:         96
        .size:           4
        .value_kind:     by_value
      - .offset:         100
        .size:           1
        .value_kind:     by_value
    .group_segment_fixed_size: 0
    .kernarg_segment_align: 8
    .kernarg_segment_size: 104
    .language:       OpenCL C
    .language_version:
      - 2
      - 0
    .max_flat_workgroup_size: 256
    .name:           _ZN9rocsparseL22bsrxmvn_general_kernelILj256ELj16EfllfffEEv20rocsparse_direction_NS_24const_host_device_scalarIT1_EET3_PKS5_PKT2_SA_S7_PKT4_S5_PKT5_S4_PT6_21rocsparse_index_base_b
    .private_segment_fixed_size: 0
    .sgpr_count:     38
    .sgpr_spill_count: 0
    .symbol:         _ZN9rocsparseL22bsrxmvn_general_kernelILj256ELj16EfllfffEEv20rocsparse_direction_NS_24const_host_device_scalarIT1_EET3_PKS5_PKT2_SA_S7_PKT4_S5_PKT5_S4_PT6_21rocsparse_index_base_b.kd
    .uniform_work_group_size: 1
    .uses_dynamic_stack: false
    .vgpr_count:     23
    .vgpr_spill_count: 0
    .wavefront_size: 32
    .workgroup_processor_mode: 1
  - .args:
      - .offset:         0
        .size:           4
        .value_kind:     by_value
      - .offset:         8
        .size:           8
        .value_kind:     by_value
      - .offset:         16
        .size:           8
        .value_kind:     by_value
      - .actual_access:  read_only
        .address_space:  global
        .offset:         24
        .size:           8
        .value_kind:     global_buffer
      - .actual_access:  read_only
        .address_space:  global
        .offset:         32
        .size:           8
        .value_kind:     global_buffer
      - .actual_access:  read_only
        .address_space:  global
        .offset:         40
        .size:           8
        .value_kind:     global_buffer
      - .actual_access:  read_only
        .address_space:  global
        .offset:         48
        .size:           8
        .value_kind:     global_buffer
      - .actual_access:  read_only
        .address_space:  global
        .offset:         56
        .size:           8
        .value_kind:     global_buffer
      - .offset:         64
        .size:           8
        .value_kind:     by_value
      - .actual_access:  read_only
        .address_space:  global
        .offset:         72
        .size:           8
        .value_kind:     global_buffer
      - .offset:         80
        .size:           8
        .value_kind:     by_value
      - .address_space:  global
        .offset:         88
        .size:           8
        .value_kind:     global_buffer
      - .offset:         96
        .size:           4
        .value_kind:     by_value
      - .offset:         100
        .size:           1
        .value_kind:     by_value
    .group_segment_fixed_size: 0
    .kernarg_segment_align: 8
    .kernarg_segment_size: 104
    .language:       OpenCL C
    .language_version:
      - 2
      - 0
    .max_flat_workgroup_size: 1024
    .name:           _ZN9rocsparseL22bsrxmvn_general_kernelILj1024ELj32EfllfffEEv20rocsparse_direction_NS_24const_host_device_scalarIT1_EET3_PKS5_PKT2_SA_S7_PKT4_S5_PKT5_S4_PT6_21rocsparse_index_base_b
    .private_segment_fixed_size: 0
    .sgpr_count:     38
    .sgpr_spill_count: 0
    .symbol:         _ZN9rocsparseL22bsrxmvn_general_kernelILj1024ELj32EfllfffEEv20rocsparse_direction_NS_24const_host_device_scalarIT1_EET3_PKS5_PKT2_SA_S7_PKT4_S5_PKT5_S4_PT6_21rocsparse_index_base_b.kd
    .uniform_work_group_size: 1
    .uses_dynamic_stack: false
    .vgpr_count:     24
    .vgpr_spill_count: 0
    .wavefront_size: 32
    .workgroup_processor_mode: 1
  - .args:
      - .offset:         0
        .size:           4
        .value_kind:     by_value
      - .offset:         8
        .size:           8
        .value_kind:     by_value
      - .offset:         16
        .size:           8
        .value_kind:     by_value
      - .actual_access:  read_only
        .address_space:  global
        .offset:         24
        .size:           8
        .value_kind:     global_buffer
      - .actual_access:  read_only
        .address_space:  global
        .offset:         32
        .size:           8
        .value_kind:     global_buffer
      - .actual_access:  read_only
        .address_space:  global
        .offset:         40
        .size:           8
        .value_kind:     global_buffer
      - .actual_access:  read_only
        .address_space:  global
        .offset:         48
        .size:           8
        .value_kind:     global_buffer
      - .actual_access:  read_only
        .address_space:  global
        .offset:         56
        .size:           8
        .value_kind:     global_buffer
      - .offset:         64
        .size:           8
        .value_kind:     by_value
      - .actual_access:  read_only
        .address_space:  global
        .offset:         72
        .size:           8
        .value_kind:     global_buffer
      - .offset:         80
        .size:           8
        .value_kind:     by_value
      - .address_space:  global
        .offset:         88
        .size:           8
        .value_kind:     global_buffer
      - .offset:         96
        .size:           4
        .value_kind:     by_value
      - .offset:         100
        .size:           1
        .value_kind:     by_value
    .group_segment_fixed_size: 0
    .kernarg_segment_align: 8
    .kernarg_segment_size: 104
    .language:       OpenCL C
    .language_version:
      - 2
      - 0
    .max_flat_workgroup_size: 64
    .name:           _ZN9rocsparseL22bsrxmvn_general_kernelILj64ELj8EdlldddEEv20rocsparse_direction_NS_24const_host_device_scalarIT1_EET3_PKS5_PKT2_SA_S7_PKT4_S5_PKT5_S4_PT6_21rocsparse_index_base_b
    .private_segment_fixed_size: 0
    .sgpr_count:     33
    .sgpr_spill_count: 0
    .symbol:         _ZN9rocsparseL22bsrxmvn_general_kernelILj64ELj8EdlldddEEv20rocsparse_direction_NS_24const_host_device_scalarIT1_EET3_PKS5_PKT2_SA_S7_PKT4_S5_PKT5_S4_PT6_21rocsparse_index_base_b.kd
    .uniform_work_group_size: 1
    .uses_dynamic_stack: false
    .vgpr_count:     27
    .vgpr_spill_count: 0
    .wavefront_size: 32
    .workgroup_processor_mode: 1
  - .args:
      - .offset:         0
        .size:           4
        .value_kind:     by_value
      - .offset:         8
        .size:           8
        .value_kind:     by_value
      - .offset:         16
        .size:           8
        .value_kind:     by_value
      - .actual_access:  read_only
        .address_space:  global
        .offset:         24
        .size:           8
        .value_kind:     global_buffer
      - .actual_access:  read_only
        .address_space:  global
        .offset:         32
        .size:           8
        .value_kind:     global_buffer
      - .actual_access:  read_only
        .address_space:  global
        .offset:         40
        .size:           8
        .value_kind:     global_buffer
      - .actual_access:  read_only
        .address_space:  global
        .offset:         48
        .size:           8
        .value_kind:     global_buffer
      - .actual_access:  read_only
        .address_space:  global
        .offset:         56
        .size:           8
        .value_kind:     global_buffer
      - .offset:         64
        .size:           8
        .value_kind:     by_value
      - .actual_access:  read_only
        .address_space:  global
        .offset:         72
        .size:           8
        .value_kind:     global_buffer
      - .offset:         80
        .size:           8
        .value_kind:     by_value
      - .address_space:  global
        .offset:         88
        .size:           8
        .value_kind:     global_buffer
      - .offset:         96
        .size:           4
        .value_kind:     by_value
      - .offset:         100
        .size:           1
        .value_kind:     by_value
    .group_segment_fixed_size: 0
    .kernarg_segment_align: 8
    .kernarg_segment_size: 104
    .language:       OpenCL C
    .language_version:
      - 2
      - 0
    .max_flat_workgroup_size: 256
    .name:           _ZN9rocsparseL22bsrxmvn_general_kernelILj256ELj16EdlldddEEv20rocsparse_direction_NS_24const_host_device_scalarIT1_EET3_PKS5_PKT2_SA_S7_PKT4_S5_PKT5_S4_PT6_21rocsparse_index_base_b
    .private_segment_fixed_size: 0
    .sgpr_count:     36
    .sgpr_spill_count: 0
    .symbol:         _ZN9rocsparseL22bsrxmvn_general_kernelILj256ELj16EdlldddEEv20rocsparse_direction_NS_24const_host_device_scalarIT1_EET3_PKS5_PKT2_SA_S7_PKT4_S5_PKT5_S4_PT6_21rocsparse_index_base_b.kd
    .uniform_work_group_size: 1
    .uses_dynamic_stack: false
    .vgpr_count:     28
    .vgpr_spill_count: 0
    .wavefront_size: 32
    .workgroup_processor_mode: 1
  - .args:
      - .offset:         0
        .size:           4
        .value_kind:     by_value
      - .offset:         8
        .size:           8
        .value_kind:     by_value
      - .offset:         16
        .size:           8
        .value_kind:     by_value
      - .actual_access:  read_only
        .address_space:  global
        .offset:         24
        .size:           8
        .value_kind:     global_buffer
      - .actual_access:  read_only
        .address_space:  global
        .offset:         32
        .size:           8
        .value_kind:     global_buffer
      - .actual_access:  read_only
        .address_space:  global
        .offset:         40
        .size:           8
        .value_kind:     global_buffer
      - .actual_access:  read_only
        .address_space:  global
        .offset:         48
        .size:           8
        .value_kind:     global_buffer
      - .actual_access:  read_only
        .address_space:  global
        .offset:         56
        .size:           8
        .value_kind:     global_buffer
      - .offset:         64
        .size:           8
        .value_kind:     by_value
      - .actual_access:  read_only
        .address_space:  global
        .offset:         72
        .size:           8
        .value_kind:     global_buffer
      - .offset:         80
        .size:           8
        .value_kind:     by_value
      - .address_space:  global
        .offset:         88
        .size:           8
        .value_kind:     global_buffer
      - .offset:         96
        .size:           4
        .value_kind:     by_value
      - .offset:         100
        .size:           1
        .value_kind:     by_value
    .group_segment_fixed_size: 0
    .kernarg_segment_align: 8
    .kernarg_segment_size: 104
    .language:       OpenCL C
    .language_version:
      - 2
      - 0
    .max_flat_workgroup_size: 1024
    .name:           _ZN9rocsparseL22bsrxmvn_general_kernelILj1024ELj32EdlldddEEv20rocsparse_direction_NS_24const_host_device_scalarIT1_EET3_PKS5_PKT2_SA_S7_PKT4_S5_PKT5_S4_PT6_21rocsparse_index_base_b
    .private_segment_fixed_size: 0
    .sgpr_count:     36
    .sgpr_spill_count: 0
    .symbol:         _ZN9rocsparseL22bsrxmvn_general_kernelILj1024ELj32EdlldddEEv20rocsparse_direction_NS_24const_host_device_scalarIT1_EET3_PKS5_PKT2_SA_S7_PKT4_S5_PKT5_S4_PT6_21rocsparse_index_base_b.kd
    .uniform_work_group_size: 1
    .uses_dynamic_stack: false
    .vgpr_count:     29
    .vgpr_spill_count: 0
    .wavefront_size: 32
    .workgroup_processor_mode: 1
  - .args:
      - .offset:         0
        .size:           4
        .value_kind:     by_value
      - .offset:         8
        .size:           8
        .value_kind:     by_value
      - .offset:         16
        .size:           8
        .value_kind:     by_value
      - .actual_access:  read_only
        .address_space:  global
        .offset:         24
        .size:           8
        .value_kind:     global_buffer
      - .actual_access:  read_only
        .address_space:  global
        .offset:         32
        .size:           8
        .value_kind:     global_buffer
      - .actual_access:  read_only
        .address_space:  global
        .offset:         40
        .size:           8
        .value_kind:     global_buffer
      - .actual_access:  read_only
        .address_space:  global
        .offset:         48
        .size:           8
        .value_kind:     global_buffer
      - .actual_access:  read_only
        .address_space:  global
        .offset:         56
        .size:           8
        .value_kind:     global_buffer
      - .offset:         64
        .size:           8
        .value_kind:     by_value
      - .actual_access:  read_only
        .address_space:  global
        .offset:         72
        .size:           8
        .value_kind:     global_buffer
      - .offset:         80
        .size:           8
        .value_kind:     by_value
      - .address_space:  global
        .offset:         88
        .size:           8
        .value_kind:     global_buffer
      - .offset:         96
        .size:           4
        .value_kind:     by_value
      - .offset:         100
        .size:           1
        .value_kind:     by_value
    .group_segment_fixed_size: 0
    .kernarg_segment_align: 8
    .kernarg_segment_size: 104
    .language:       OpenCL C
    .language_version:
      - 2
      - 0
    .max_flat_workgroup_size: 64
    .name:           _ZN9rocsparseL22bsrxmvn_general_kernelILj64ELj8E21rocsparse_complex_numIfEllS2_S2_S2_EEv20rocsparse_direction_NS_24const_host_device_scalarIT1_EET3_PKS7_PKT2_SC_S9_PKT4_S7_PKT5_S6_PT6_21rocsparse_index_base_b
    .private_segment_fixed_size: 0
    .sgpr_count:     33
    .sgpr_spill_count: 0
    .symbol:         _ZN9rocsparseL22bsrxmvn_general_kernelILj64ELj8E21rocsparse_complex_numIfEllS2_S2_S2_EEv20rocsparse_direction_NS_24const_host_device_scalarIT1_EET3_PKS7_PKT2_SC_S9_PKT4_S7_PKT5_S6_PT6_21rocsparse_index_base_b.kd
    .uniform_work_group_size: 1
    .uses_dynamic_stack: false
    .vgpr_count:     27
    .vgpr_spill_count: 0
    .wavefront_size: 32
    .workgroup_processor_mode: 1
  - .args:
      - .offset:         0
        .size:           4
        .value_kind:     by_value
      - .offset:         8
        .size:           8
        .value_kind:     by_value
      - .offset:         16
        .size:           8
        .value_kind:     by_value
      - .actual_access:  read_only
        .address_space:  global
        .offset:         24
        .size:           8
        .value_kind:     global_buffer
      - .actual_access:  read_only
        .address_space:  global
        .offset:         32
        .size:           8
        .value_kind:     global_buffer
      - .actual_access:  read_only
        .address_space:  global
        .offset:         40
        .size:           8
        .value_kind:     global_buffer
      - .actual_access:  read_only
        .address_space:  global
        .offset:         48
        .size:           8
        .value_kind:     global_buffer
      - .actual_access:  read_only
        .address_space:  global
        .offset:         56
        .size:           8
        .value_kind:     global_buffer
      - .offset:         64
        .size:           8
        .value_kind:     by_value
      - .actual_access:  read_only
        .address_space:  global
        .offset:         72
        .size:           8
        .value_kind:     global_buffer
      - .offset:         80
        .size:           8
        .value_kind:     by_value
      - .address_space:  global
        .offset:         88
        .size:           8
        .value_kind:     global_buffer
      - .offset:         96
        .size:           4
        .value_kind:     by_value
      - .offset:         100
        .size:           1
        .value_kind:     by_value
    .group_segment_fixed_size: 0
    .kernarg_segment_align: 8
    .kernarg_segment_size: 104
    .language:       OpenCL C
    .language_version:
      - 2
      - 0
    .max_flat_workgroup_size: 256
    .name:           _ZN9rocsparseL22bsrxmvn_general_kernelILj256ELj16E21rocsparse_complex_numIfEllS2_S2_S2_EEv20rocsparse_direction_NS_24const_host_device_scalarIT1_EET3_PKS7_PKT2_SC_S9_PKT4_S7_PKT5_S6_PT6_21rocsparse_index_base_b
    .private_segment_fixed_size: 0
    .sgpr_count:     36
    .sgpr_spill_count: 0
    .symbol:         _ZN9rocsparseL22bsrxmvn_general_kernelILj256ELj16E21rocsparse_complex_numIfEllS2_S2_S2_EEv20rocsparse_direction_NS_24const_host_device_scalarIT1_EET3_PKS7_PKT2_SC_S9_PKT4_S7_PKT5_S6_PT6_21rocsparse_index_base_b.kd
    .uniform_work_group_size: 1
    .uses_dynamic_stack: false
    .vgpr_count:     28
    .vgpr_spill_count: 0
    .wavefront_size: 32
    .workgroup_processor_mode: 1
  - .args:
      - .offset:         0
        .size:           4
        .value_kind:     by_value
      - .offset:         8
        .size:           8
        .value_kind:     by_value
      - .offset:         16
        .size:           8
        .value_kind:     by_value
      - .actual_access:  read_only
        .address_space:  global
        .offset:         24
        .size:           8
        .value_kind:     global_buffer
      - .actual_access:  read_only
        .address_space:  global
        .offset:         32
        .size:           8
        .value_kind:     global_buffer
      - .actual_access:  read_only
        .address_space:  global
        .offset:         40
        .size:           8
        .value_kind:     global_buffer
      - .actual_access:  read_only
        .address_space:  global
        .offset:         48
        .size:           8
        .value_kind:     global_buffer
      - .actual_access:  read_only
        .address_space:  global
        .offset:         56
        .size:           8
        .value_kind:     global_buffer
      - .offset:         64
        .size:           8
        .value_kind:     by_value
      - .actual_access:  read_only
        .address_space:  global
        .offset:         72
        .size:           8
        .value_kind:     global_buffer
      - .offset:         80
        .size:           8
        .value_kind:     by_value
      - .address_space:  global
        .offset:         88
        .size:           8
        .value_kind:     global_buffer
      - .offset:         96
        .size:           4
        .value_kind:     by_value
      - .offset:         100
        .size:           1
        .value_kind:     by_value
    .group_segment_fixed_size: 0
    .kernarg_segment_align: 8
    .kernarg_segment_size: 104
    .language:       OpenCL C
    .language_version:
      - 2
      - 0
    .max_flat_workgroup_size: 1024
    .name:           _ZN9rocsparseL22bsrxmvn_general_kernelILj1024ELj32E21rocsparse_complex_numIfEllS2_S2_S2_EEv20rocsparse_direction_NS_24const_host_device_scalarIT1_EET3_PKS7_PKT2_SC_S9_PKT4_S7_PKT5_S6_PT6_21rocsparse_index_base_b
    .private_segment_fixed_size: 0
    .sgpr_count:     36
    .sgpr_spill_count: 0
    .symbol:         _ZN9rocsparseL22bsrxmvn_general_kernelILj1024ELj32E21rocsparse_complex_numIfEllS2_S2_S2_EEv20rocsparse_direction_NS_24const_host_device_scalarIT1_EET3_PKS7_PKT2_SC_S9_PKT4_S7_PKT5_S6_PT6_21rocsparse_index_base_b.kd
    .uniform_work_group_size: 1
    .uses_dynamic_stack: false
    .vgpr_count:     29
    .vgpr_spill_count: 0
    .wavefront_size: 32
    .workgroup_processor_mode: 1
  - .args:
      - .offset:         0
        .size:           4
        .value_kind:     by_value
      - .offset:         8
        .size:           16
        .value_kind:     by_value
      - .offset:         24
        .size:           8
        .value_kind:     by_value
      - .actual_access:  read_only
        .address_space:  global
        .offset:         32
        .size:           8
        .value_kind:     global_buffer
      - .actual_access:  read_only
        .address_space:  global
        .offset:         40
        .size:           8
        .value_kind:     global_buffer
      - .actual_access:  read_only
        .address_space:  global
        .offset:         48
        .size:           8
        .value_kind:     global_buffer
      - .actual_access:  read_only
        .address_space:  global
        .offset:         56
        .size:           8
        .value_kind:     global_buffer
      - .actual_access:  read_only
        .address_space:  global
        .offset:         64
        .size:           8
        .value_kind:     global_buffer
      - .offset:         72
        .size:           8
        .value_kind:     by_value
      - .actual_access:  read_only
        .address_space:  global
        .offset:         80
        .size:           8
        .value_kind:     global_buffer
      - .offset:         88
        .size:           16
        .value_kind:     by_value
      - .address_space:  global
        .offset:         104
        .size:           8
        .value_kind:     global_buffer
      - .offset:         112
        .size:           4
        .value_kind:     by_value
      - .offset:         116
        .size:           1
        .value_kind:     by_value
    .group_segment_fixed_size: 0
    .kernarg_segment_align: 8
    .kernarg_segment_size: 120
    .language:       OpenCL C
    .language_version:
      - 2
      - 0
    .max_flat_workgroup_size: 64
    .name:           _ZN9rocsparseL22bsrxmvn_general_kernelILj64ELj8E21rocsparse_complex_numIdEllS2_S2_S2_EEv20rocsparse_direction_NS_24const_host_device_scalarIT1_EET3_PKS7_PKT2_SC_S9_PKT4_S7_PKT5_S6_PT6_21rocsparse_index_base_b
    .private_segment_fixed_size: 0
    .sgpr_count:     36
    .sgpr_spill_count: 0
    .symbol:         _ZN9rocsparseL22bsrxmvn_general_kernelILj64ELj8E21rocsparse_complex_numIdEllS2_S2_S2_EEv20rocsparse_direction_NS_24const_host_device_scalarIT1_EET3_PKS7_PKT2_SC_S9_PKT4_S7_PKT5_S6_PT6_21rocsparse_index_base_b.kd
    .uniform_work_group_size: 1
    .uses_dynamic_stack: false
    .vgpr_count:     39
    .vgpr_spill_count: 0
    .wavefront_size: 32
    .workgroup_processor_mode: 1
  - .args:
      - .offset:         0
        .size:           4
        .value_kind:     by_value
      - .offset:         8
        .size:           16
        .value_kind:     by_value
      - .offset:         24
        .size:           8
        .value_kind:     by_value
      - .actual_access:  read_only
        .address_space:  global
        .offset:         32
        .size:           8
        .value_kind:     global_buffer
      - .actual_access:  read_only
        .address_space:  global
        .offset:         40
        .size:           8
        .value_kind:     global_buffer
      - .actual_access:  read_only
        .address_space:  global
        .offset:         48
        .size:           8
        .value_kind:     global_buffer
      - .actual_access:  read_only
        .address_space:  global
        .offset:         56
        .size:           8
        .value_kind:     global_buffer
      - .actual_access:  read_only
        .address_space:  global
        .offset:         64
        .size:           8
        .value_kind:     global_buffer
      - .offset:         72
        .size:           8
        .value_kind:     by_value
      - .actual_access:  read_only
        .address_space:  global
        .offset:         80
        .size:           8
        .value_kind:     global_buffer
      - .offset:         88
        .size:           16
        .value_kind:     by_value
      - .address_space:  global
        .offset:         104
        .size:           8
        .value_kind:     global_buffer
      - .offset:         112
        .size:           4
        .value_kind:     by_value
      - .offset:         116
        .size:           1
        .value_kind:     by_value
    .group_segment_fixed_size: 0
    .kernarg_segment_align: 8
    .kernarg_segment_size: 120
    .language:       OpenCL C
    .language_version:
      - 2
      - 0
    .max_flat_workgroup_size: 256
    .name:           _ZN9rocsparseL22bsrxmvn_general_kernelILj256ELj16E21rocsparse_complex_numIdEllS2_S2_S2_EEv20rocsparse_direction_NS_24const_host_device_scalarIT1_EET3_PKS7_PKT2_SC_S9_PKT4_S7_PKT5_S6_PT6_21rocsparse_index_base_b
    .private_segment_fixed_size: 0
    .sgpr_count:     33
    .sgpr_spill_count: 0
    .symbol:         _ZN9rocsparseL22bsrxmvn_general_kernelILj256ELj16E21rocsparse_complex_numIdEllS2_S2_S2_EEv20rocsparse_direction_NS_24const_host_device_scalarIT1_EET3_PKS7_PKT2_SC_S9_PKT4_S7_PKT5_S6_PT6_21rocsparse_index_base_b.kd
    .uniform_work_group_size: 1
    .uses_dynamic_stack: false
    .vgpr_count:     40
    .vgpr_spill_count: 0
    .wavefront_size: 32
    .workgroup_processor_mode: 1
  - .args:
      - .offset:         0
        .size:           4
        .value_kind:     by_value
      - .offset:         8
        .size:           16
        .value_kind:     by_value
      - .offset:         24
        .size:           8
        .value_kind:     by_value
      - .actual_access:  read_only
        .address_space:  global
        .offset:         32
        .size:           8
        .value_kind:     global_buffer
      - .actual_access:  read_only
        .address_space:  global
        .offset:         40
        .size:           8
        .value_kind:     global_buffer
      - .actual_access:  read_only
        .address_space:  global
        .offset:         48
        .size:           8
        .value_kind:     global_buffer
      - .actual_access:  read_only
        .address_space:  global
        .offset:         56
        .size:           8
        .value_kind:     global_buffer
      - .actual_access:  read_only
        .address_space:  global
        .offset:         64
        .size:           8
        .value_kind:     global_buffer
      - .offset:         72
        .size:           8
        .value_kind:     by_value
      - .actual_access:  read_only
        .address_space:  global
        .offset:         80
        .size:           8
        .value_kind:     global_buffer
      - .offset:         88
        .size:           16
        .value_kind:     by_value
      - .address_space:  global
        .offset:         104
        .size:           8
        .value_kind:     global_buffer
      - .offset:         112
        .size:           4
        .value_kind:     by_value
      - .offset:         116
        .size:           1
        .value_kind:     by_value
    .group_segment_fixed_size: 0
    .kernarg_segment_align: 8
    .kernarg_segment_size: 120
    .language:       OpenCL C
    .language_version:
      - 2
      - 0
    .max_flat_workgroup_size: 1024
    .name:           _ZN9rocsparseL22bsrxmvn_general_kernelILj1024ELj32E21rocsparse_complex_numIdEllS2_S2_S2_EEv20rocsparse_direction_NS_24const_host_device_scalarIT1_EET3_PKS7_PKT2_SC_S9_PKT4_S7_PKT5_S6_PT6_21rocsparse_index_base_b
    .private_segment_fixed_size: 0
    .sgpr_count:     36
    .sgpr_spill_count: 0
    .symbol:         _ZN9rocsparseL22bsrxmvn_general_kernelILj1024ELj32E21rocsparse_complex_numIdEllS2_S2_S2_EEv20rocsparse_direction_NS_24const_host_device_scalarIT1_EET3_PKS7_PKT2_SC_S9_PKT4_S7_PKT5_S6_PT6_21rocsparse_index_base_b.kd
    .uniform_work_group_size: 1
    .uses_dynamic_stack: false
    .vgpr_count:     41
    .vgpr_spill_count: 0
    .wavefront_size: 32
    .workgroup_processor_mode: 1
  - .args:
      - .offset:         0
        .size:           4
        .value_kind:     by_value
      - .offset:         8
        .size:           8
        .value_kind:     by_value
      - .offset:         16
        .size:           4
        .value_kind:     by_value
      - .actual_access:  read_only
        .address_space:  global
        .offset:         24
        .size:           8
        .value_kind:     global_buffer
      - .actual_access:  read_only
        .address_space:  global
        .offset:         32
        .size:           8
        .value_kind:     global_buffer
      - .actual_access:  read_only
        .address_space:  global
        .offset:         40
        .size:           8
        .value_kind:     global_buffer
      - .actual_access:  read_only
        .address_space:  global
        .offset:         48
        .size:           8
        .value_kind:     global_buffer
      - .actual_access:  read_only
        .address_space:  global
        .offset:         56
        .size:           8
        .value_kind:     global_buffer
      - .offset:         64
        .size:           4
        .value_kind:     by_value
      - .actual_access:  read_only
        .address_space:  global
        .offset:         72
        .size:           8
        .value_kind:     global_buffer
      - .offset:         80
        .size:           8
        .value_kind:     by_value
      - .address_space:  global
        .offset:         88
        .size:           8
        .value_kind:     global_buffer
      - .offset:         96
        .size:           4
        .value_kind:     by_value
      - .offset:         100
        .size:           1
        .value_kind:     by_value
    .group_segment_fixed_size: 0
    .kernarg_segment_align: 8
    .kernarg_segment_size: 104
    .language:       OpenCL C
    .language_version:
      - 2
      - 0
    .max_flat_workgroup_size: 64
    .name:           _ZN9rocsparseL22bsrxmvn_general_kernelILj64ELj8EiiiaaiEEv20rocsparse_direction_NS_24const_host_device_scalarIT1_EET3_PKS5_PKT2_SA_S7_PKT4_S5_PKT5_S4_PT6_21rocsparse_index_base_b
    .private_segment_fixed_size: 0
    .sgpr_count:     34
    .sgpr_spill_count: 0
    .symbol:         _ZN9rocsparseL22bsrxmvn_general_kernelILj64ELj8EiiiaaiEEv20rocsparse_direction_NS_24const_host_device_scalarIT1_EET3_PKS5_PKT2_SA_S7_PKT4_S5_PKT5_S4_PT6_21rocsparse_index_base_b.kd
    .uniform_work_group_size: 1
    .uses_dynamic_stack: false
    .vgpr_count:     21
    .vgpr_spill_count: 0
    .wavefront_size: 32
    .workgroup_processor_mode: 1
  - .args:
      - .offset:         0
        .size:           4
        .value_kind:     by_value
      - .offset:         8
        .size:           8
        .value_kind:     by_value
      - .offset:         16
        .size:           4
        .value_kind:     by_value
      - .actual_access:  read_only
        .address_space:  global
        .offset:         24
        .size:           8
        .value_kind:     global_buffer
      - .actual_access:  read_only
        .address_space:  global
        .offset:         32
        .size:           8
        .value_kind:     global_buffer
      - .actual_access:  read_only
        .address_space:  global
        .offset:         40
        .size:           8
        .value_kind:     global_buffer
      - .actual_access:  read_only
        .address_space:  global
        .offset:         48
        .size:           8
        .value_kind:     global_buffer
      - .actual_access:  read_only
        .address_space:  global
        .offset:         56
        .size:           8
        .value_kind:     global_buffer
      - .offset:         64
        .size:           4
        .value_kind:     by_value
      - .actual_access:  read_only
        .address_space:  global
        .offset:         72
        .size:           8
        .value_kind:     global_buffer
      - .offset:         80
        .size:           8
        .value_kind:     by_value
      - .address_space:  global
        .offset:         88
        .size:           8
        .value_kind:     global_buffer
      - .offset:         96
        .size:           4
        .value_kind:     by_value
      - .offset:         100
        .size:           1
        .value_kind:     by_value
    .group_segment_fixed_size: 0
    .kernarg_segment_align: 8
    .kernarg_segment_size: 104
    .language:       OpenCL C
    .language_version:
      - 2
      - 0
    .max_flat_workgroup_size: 256
    .name:           _ZN9rocsparseL22bsrxmvn_general_kernelILj256ELj16EiiiaaiEEv20rocsparse_direction_NS_24const_host_device_scalarIT1_EET3_PKS5_PKT2_SA_S7_PKT4_S5_PKT5_S4_PT6_21rocsparse_index_base_b
    .private_segment_fixed_size: 0
    .sgpr_count:     34
    .sgpr_spill_count: 0
    .symbol:         _ZN9rocsparseL22bsrxmvn_general_kernelILj256ELj16EiiiaaiEEv20rocsparse_direction_NS_24const_host_device_scalarIT1_EET3_PKS5_PKT2_SA_S7_PKT4_S5_PKT5_S4_PT6_21rocsparse_index_base_b.kd
    .uniform_work_group_size: 1
    .uses_dynamic_stack: false
    .vgpr_count:     22
    .vgpr_spill_count: 0
    .wavefront_size: 32
    .workgroup_processor_mode: 1
  - .args:
      - .offset:         0
        .size:           4
        .value_kind:     by_value
      - .offset:         8
        .size:           8
        .value_kind:     by_value
      - .offset:         16
        .size:           4
        .value_kind:     by_value
      - .actual_access:  read_only
        .address_space:  global
        .offset:         24
        .size:           8
        .value_kind:     global_buffer
      - .actual_access:  read_only
        .address_space:  global
        .offset:         32
        .size:           8
        .value_kind:     global_buffer
      - .actual_access:  read_only
        .address_space:  global
        .offset:         40
        .size:           8
        .value_kind:     global_buffer
      - .actual_access:  read_only
        .address_space:  global
        .offset:         48
        .size:           8
        .value_kind:     global_buffer
      - .actual_access:  read_only
        .address_space:  global
        .offset:         56
        .size:           8
        .value_kind:     global_buffer
      - .offset:         64
        .size:           4
        .value_kind:     by_value
      - .actual_access:  read_only
        .address_space:  global
        .offset:         72
        .size:           8
        .value_kind:     global_buffer
      - .offset:         80
        .size:           8
        .value_kind:     by_value
      - .address_space:  global
        .offset:         88
        .size:           8
        .value_kind:     global_buffer
      - .offset:         96
        .size:           4
        .value_kind:     by_value
      - .offset:         100
        .size:           1
        .value_kind:     by_value
    .group_segment_fixed_size: 0
    .kernarg_segment_align: 8
    .kernarg_segment_size: 104
    .language:       OpenCL C
    .language_version:
      - 2
      - 0
    .max_flat_workgroup_size: 1024
    .name:           _ZN9rocsparseL22bsrxmvn_general_kernelILj1024ELj32EiiiaaiEEv20rocsparse_direction_NS_24const_host_device_scalarIT1_EET3_PKS5_PKT2_SA_S7_PKT4_S5_PKT5_S4_PT6_21rocsparse_index_base_b
    .private_segment_fixed_size: 0
    .sgpr_count:     34
    .sgpr_spill_count: 0
    .symbol:         _ZN9rocsparseL22bsrxmvn_general_kernelILj1024ELj32EiiiaaiEEv20rocsparse_direction_NS_24const_host_device_scalarIT1_EET3_PKS5_PKT2_SA_S7_PKT4_S5_PKT5_S4_PT6_21rocsparse_index_base_b.kd
    .uniform_work_group_size: 1
    .uses_dynamic_stack: false
    .vgpr_count:     23
    .vgpr_spill_count: 0
    .wavefront_size: 32
    .workgroup_processor_mode: 1
  - .args:
      - .offset:         0
        .size:           4
        .value_kind:     by_value
      - .offset:         8
        .size:           8
        .value_kind:     by_value
      - .offset:         16
        .size:           4
        .value_kind:     by_value
      - .actual_access:  read_only
        .address_space:  global
        .offset:         24
        .size:           8
        .value_kind:     global_buffer
      - .actual_access:  read_only
        .address_space:  global
        .offset:         32
        .size:           8
        .value_kind:     global_buffer
      - .actual_access:  read_only
        .address_space:  global
        .offset:         40
        .size:           8
        .value_kind:     global_buffer
      - .actual_access:  read_only
        .address_space:  global
        .offset:         48
        .size:           8
        .value_kind:     global_buffer
      - .actual_access:  read_only
        .address_space:  global
        .offset:         56
        .size:           8
        .value_kind:     global_buffer
      - .offset:         64
        .size:           4
        .value_kind:     by_value
      - .actual_access:  read_only
        .address_space:  global
        .offset:         72
        .size:           8
        .value_kind:     global_buffer
      - .offset:         80
        .size:           8
        .value_kind:     by_value
      - .address_space:  global
        .offset:         88
        .size:           8
        .value_kind:     global_buffer
      - .offset:         96
        .size:           4
        .value_kind:     by_value
      - .offset:         100
        .size:           1
        .value_kind:     by_value
    .group_segment_fixed_size: 0
    .kernarg_segment_align: 8
    .kernarg_segment_size: 104
    .language:       OpenCL C
    .language_version:
      - 2
      - 0
    .max_flat_workgroup_size: 64
    .name:           _ZN9rocsparseL22bsrxmvn_general_kernelILj64ELj8EiliaaiEEv20rocsparse_direction_NS_24const_host_device_scalarIT1_EET3_PKS5_PKT2_SA_S7_PKT4_S5_PKT5_S4_PT6_21rocsparse_index_base_b
    .private_segment_fixed_size: 0
    .sgpr_count:     38
    .sgpr_spill_count: 0
    .symbol:         _ZN9rocsparseL22bsrxmvn_general_kernelILj64ELj8EiliaaiEEv20rocsparse_direction_NS_24const_host_device_scalarIT1_EET3_PKS5_PKT2_SA_S7_PKT4_S5_PKT5_S4_PT6_21rocsparse_index_base_b.kd
    .uniform_work_group_size: 1
    .uses_dynamic_stack: false
    .vgpr_count:     21
    .vgpr_spill_count: 0
    .wavefront_size: 32
    .workgroup_processor_mode: 1
  - .args:
      - .offset:         0
        .size:           4
        .value_kind:     by_value
      - .offset:         8
        .size:           8
        .value_kind:     by_value
      - .offset:         16
        .size:           4
        .value_kind:     by_value
      - .actual_access:  read_only
        .address_space:  global
        .offset:         24
        .size:           8
        .value_kind:     global_buffer
      - .actual_access:  read_only
        .address_space:  global
        .offset:         32
        .size:           8
        .value_kind:     global_buffer
      - .actual_access:  read_only
        .address_space:  global
        .offset:         40
        .size:           8
        .value_kind:     global_buffer
      - .actual_access:  read_only
        .address_space:  global
        .offset:         48
        .size:           8
        .value_kind:     global_buffer
      - .actual_access:  read_only
        .address_space:  global
        .offset:         56
        .size:           8
        .value_kind:     global_buffer
      - .offset:         64
        .size:           4
        .value_kind:     by_value
      - .actual_access:  read_only
        .address_space:  global
        .offset:         72
        .size:           8
        .value_kind:     global_buffer
      - .offset:         80
        .size:           8
        .value_kind:     by_value
      - .address_space:  global
        .offset:         88
        .size:           8
        .value_kind:     global_buffer
      - .offset:         96
        .size:           4
        .value_kind:     by_value
      - .offset:         100
        .size:           1
        .value_kind:     by_value
    .group_segment_fixed_size: 0
    .kernarg_segment_align: 8
    .kernarg_segment_size: 104
    .language:       OpenCL C
    .language_version:
      - 2
      - 0
    .max_flat_workgroup_size: 256
    .name:           _ZN9rocsparseL22bsrxmvn_general_kernelILj256ELj16EiliaaiEEv20rocsparse_direction_NS_24const_host_device_scalarIT1_EET3_PKS5_PKT2_SA_S7_PKT4_S5_PKT5_S4_PT6_21rocsparse_index_base_b
    .private_segment_fixed_size: 0
    .sgpr_count:     38
    .sgpr_spill_count: 0
    .symbol:         _ZN9rocsparseL22bsrxmvn_general_kernelILj256ELj16EiliaaiEEv20rocsparse_direction_NS_24const_host_device_scalarIT1_EET3_PKS5_PKT2_SA_S7_PKT4_S5_PKT5_S4_PT6_21rocsparse_index_base_b.kd
    .uniform_work_group_size: 1
    .uses_dynamic_stack: false
    .vgpr_count:     22
    .vgpr_spill_count: 0
    .wavefront_size: 32
    .workgroup_processor_mode: 1
  - .args:
      - .offset:         0
        .size:           4
        .value_kind:     by_value
      - .offset:         8
        .size:           8
        .value_kind:     by_value
      - .offset:         16
        .size:           4
        .value_kind:     by_value
      - .actual_access:  read_only
        .address_space:  global
        .offset:         24
        .size:           8
        .value_kind:     global_buffer
      - .actual_access:  read_only
        .address_space:  global
        .offset:         32
        .size:           8
        .value_kind:     global_buffer
      - .actual_access:  read_only
        .address_space:  global
        .offset:         40
        .size:           8
        .value_kind:     global_buffer
      - .actual_access:  read_only
        .address_space:  global
        .offset:         48
        .size:           8
        .value_kind:     global_buffer
      - .actual_access:  read_only
        .address_space:  global
        .offset:         56
        .size:           8
        .value_kind:     global_buffer
      - .offset:         64
        .size:           4
        .value_kind:     by_value
      - .actual_access:  read_only
        .address_space:  global
        .offset:         72
        .size:           8
        .value_kind:     global_buffer
      - .offset:         80
        .size:           8
        .value_kind:     by_value
      - .address_space:  global
        .offset:         88
        .size:           8
        .value_kind:     global_buffer
      - .offset:         96
        .size:           4
        .value_kind:     by_value
      - .offset:         100
        .size:           1
        .value_kind:     by_value
    .group_segment_fixed_size: 0
    .kernarg_segment_align: 8
    .kernarg_segment_size: 104
    .language:       OpenCL C
    .language_version:
      - 2
      - 0
    .max_flat_workgroup_size: 1024
    .name:           _ZN9rocsparseL22bsrxmvn_general_kernelILj1024ELj32EiliaaiEEv20rocsparse_direction_NS_24const_host_device_scalarIT1_EET3_PKS5_PKT2_SA_S7_PKT4_S5_PKT5_S4_PT6_21rocsparse_index_base_b
    .private_segment_fixed_size: 0
    .sgpr_count:     38
    .sgpr_spill_count: 0
    .symbol:         _ZN9rocsparseL22bsrxmvn_general_kernelILj1024ELj32EiliaaiEEv20rocsparse_direction_NS_24const_host_device_scalarIT1_EET3_PKS5_PKT2_SA_S7_PKT4_S5_PKT5_S4_PT6_21rocsparse_index_base_b.kd
    .uniform_work_group_size: 1
    .uses_dynamic_stack: false
    .vgpr_count:     23
    .vgpr_spill_count: 0
    .wavefront_size: 32
    .workgroup_processor_mode: 1
  - .args:
      - .offset:         0
        .size:           4
        .value_kind:     by_value
      - .offset:         8
        .size:           8
        .value_kind:     by_value
      - .offset:         16
        .size:           8
        .value_kind:     by_value
      - .actual_access:  read_only
        .address_space:  global
        .offset:         24
        .size:           8
        .value_kind:     global_buffer
      - .actual_access:  read_only
        .address_space:  global
        .offset:         32
        .size:           8
        .value_kind:     global_buffer
      - .actual_access:  read_only
        .address_space:  global
        .offset:         40
        .size:           8
        .value_kind:     global_buffer
      - .actual_access:  read_only
        .address_space:  global
        .offset:         48
        .size:           8
        .value_kind:     global_buffer
      - .actual_access:  read_only
        .address_space:  global
        .offset:         56
        .size:           8
        .value_kind:     global_buffer
      - .offset:         64
        .size:           8
        .value_kind:     by_value
      - .actual_access:  read_only
        .address_space:  global
        .offset:         72
        .size:           8
        .value_kind:     global_buffer
      - .offset:         80
        .size:           8
        .value_kind:     by_value
      - .address_space:  global
        .offset:         88
        .size:           8
        .value_kind:     global_buffer
      - .offset:         96
        .size:           4
        .value_kind:     by_value
      - .offset:         100
        .size:           1
        .value_kind:     by_value
    .group_segment_fixed_size: 0
    .kernarg_segment_align: 8
    .kernarg_segment_size: 104
    .language:       OpenCL C
    .language_version:
      - 2
      - 0
    .max_flat_workgroup_size: 64
    .name:           _ZN9rocsparseL22bsrxmvn_general_kernelILj64ELj8EillaaiEEv20rocsparse_direction_NS_24const_host_device_scalarIT1_EET3_PKS5_PKT2_SA_S7_PKT4_S5_PKT5_S4_PT6_21rocsparse_index_base_b
    .private_segment_fixed_size: 0
    .sgpr_count:     39
    .sgpr_spill_count: 0
    .symbol:         _ZN9rocsparseL22bsrxmvn_general_kernelILj64ELj8EillaaiEEv20rocsparse_direction_NS_24const_host_device_scalarIT1_EET3_PKS5_PKT2_SA_S7_PKT4_S5_PKT5_S4_PT6_21rocsparse_index_base_b.kd
    .uniform_work_group_size: 1
    .uses_dynamic_stack: false
    .vgpr_count:     18
    .vgpr_spill_count: 0
    .wavefront_size: 32
    .workgroup_processor_mode: 1
  - .args:
      - .offset:         0
        .size:           4
        .value_kind:     by_value
      - .offset:         8
        .size:           8
        .value_kind:     by_value
      - .offset:         16
        .size:           8
        .value_kind:     by_value
      - .actual_access:  read_only
        .address_space:  global
        .offset:         24
        .size:           8
        .value_kind:     global_buffer
      - .actual_access:  read_only
        .address_space:  global
        .offset:         32
        .size:           8
        .value_kind:     global_buffer
      - .actual_access:  read_only
        .address_space:  global
        .offset:         40
        .size:           8
        .value_kind:     global_buffer
      - .actual_access:  read_only
        .address_space:  global
        .offset:         48
        .size:           8
        .value_kind:     global_buffer
      - .actual_access:  read_only
        .address_space:  global
        .offset:         56
        .size:           8
        .value_kind:     global_buffer
      - .offset:         64
        .size:           8
        .value_kind:     by_value
      - .actual_access:  read_only
        .address_space:  global
        .offset:         72
        .size:           8
        .value_kind:     global_buffer
      - .offset:         80
        .size:           8
        .value_kind:     by_value
      - .address_space:  global
        .offset:         88
        .size:           8
        .value_kind:     global_buffer
      - .offset:         96
        .size:           4
        .value_kind:     by_value
      - .offset:         100
        .size:           1
        .value_kind:     by_value
    .group_segment_fixed_size: 0
    .kernarg_segment_align: 8
    .kernarg_segment_size: 104
    .language:       OpenCL C
    .language_version:
      - 2
      - 0
    .max_flat_workgroup_size: 256
    .name:           _ZN9rocsparseL22bsrxmvn_general_kernelILj256ELj16EillaaiEEv20rocsparse_direction_NS_24const_host_device_scalarIT1_EET3_PKS5_PKT2_SA_S7_PKT4_S5_PKT5_S4_PT6_21rocsparse_index_base_b
    .private_segment_fixed_size: 0
    .sgpr_count:     39
    .sgpr_spill_count: 0
    .symbol:         _ZN9rocsparseL22bsrxmvn_general_kernelILj256ELj16EillaaiEEv20rocsparse_direction_NS_24const_host_device_scalarIT1_EET3_PKS5_PKT2_SA_S7_PKT4_S5_PKT5_S4_PT6_21rocsparse_index_base_b.kd
    .uniform_work_group_size: 1
    .uses_dynamic_stack: false
    .vgpr_count:     19
    .vgpr_spill_count: 0
    .wavefront_size: 32
    .workgroup_processor_mode: 1
  - .args:
      - .offset:         0
        .size:           4
        .value_kind:     by_value
      - .offset:         8
        .size:           8
        .value_kind:     by_value
      - .offset:         16
        .size:           8
        .value_kind:     by_value
      - .actual_access:  read_only
        .address_space:  global
        .offset:         24
        .size:           8
        .value_kind:     global_buffer
      - .actual_access:  read_only
        .address_space:  global
        .offset:         32
        .size:           8
        .value_kind:     global_buffer
      - .actual_access:  read_only
        .address_space:  global
        .offset:         40
        .size:           8
        .value_kind:     global_buffer
      - .actual_access:  read_only
        .address_space:  global
        .offset:         48
        .size:           8
        .value_kind:     global_buffer
      - .actual_access:  read_only
        .address_space:  global
        .offset:         56
        .size:           8
        .value_kind:     global_buffer
      - .offset:         64
        .size:           8
        .value_kind:     by_value
      - .actual_access:  read_only
        .address_space:  global
        .offset:         72
        .size:           8
        .value_kind:     global_buffer
      - .offset:         80
        .size:           8
        .value_kind:     by_value
      - .address_space:  global
        .offset:         88
        .size:           8
        .value_kind:     global_buffer
      - .offset:         96
        .size:           4
        .value_kind:     by_value
      - .offset:         100
        .size:           1
        .value_kind:     by_value
    .group_segment_fixed_size: 0
    .kernarg_segment_align: 8
    .kernarg_segment_size: 104
    .language:       OpenCL C
    .language_version:
      - 2
      - 0
    .max_flat_workgroup_size: 1024
    .name:           _ZN9rocsparseL22bsrxmvn_general_kernelILj1024ELj32EillaaiEEv20rocsparse_direction_NS_24const_host_device_scalarIT1_EET3_PKS5_PKT2_SA_S7_PKT4_S5_PKT5_S4_PT6_21rocsparse_index_base_b
    .private_segment_fixed_size: 0
    .sgpr_count:     39
    .sgpr_spill_count: 0
    .symbol:         _ZN9rocsparseL22bsrxmvn_general_kernelILj1024ELj32EillaaiEEv20rocsparse_direction_NS_24const_host_device_scalarIT1_EET3_PKS5_PKT2_SA_S7_PKT4_S5_PKT5_S4_PT6_21rocsparse_index_base_b.kd
    .uniform_work_group_size: 1
    .uses_dynamic_stack: false
    .vgpr_count:     20
    .vgpr_spill_count: 0
    .wavefront_size: 32
    .workgroup_processor_mode: 1
  - .args:
      - .offset:         0
        .size:           4
        .value_kind:     by_value
      - .offset:         8
        .size:           8
        .value_kind:     by_value
      - .offset:         16
        .size:           4
        .value_kind:     by_value
      - .actual_access:  read_only
        .address_space:  global
        .offset:         24
        .size:           8
        .value_kind:     global_buffer
      - .actual_access:  read_only
        .address_space:  global
        .offset:         32
        .size:           8
        .value_kind:     global_buffer
      - .actual_access:  read_only
        .address_space:  global
        .offset:         40
        .size:           8
        .value_kind:     global_buffer
      - .actual_access:  read_only
        .address_space:  global
        .offset:         48
        .size:           8
        .value_kind:     global_buffer
      - .actual_access:  read_only
        .address_space:  global
        .offset:         56
        .size:           8
        .value_kind:     global_buffer
      - .offset:         64
        .size:           4
        .value_kind:     by_value
      - .actual_access:  read_only
        .address_space:  global
        .offset:         72
        .size:           8
        .value_kind:     global_buffer
      - .offset:         80
        .size:           8
        .value_kind:     by_value
      - .address_space:  global
        .offset:         88
        .size:           8
        .value_kind:     global_buffer
      - .offset:         96
        .size:           4
        .value_kind:     by_value
      - .offset:         100
        .size:           1
        .value_kind:     by_value
    .group_segment_fixed_size: 0
    .kernarg_segment_align: 8
    .kernarg_segment_size: 104
    .language:       OpenCL C
    .language_version:
      - 2
      - 0
    .max_flat_workgroup_size: 64
    .name:           _ZN9rocsparseL22bsrxmvn_general_kernelILj64ELj8EfiiaafEEv20rocsparse_direction_NS_24const_host_device_scalarIT1_EET3_PKS5_PKT2_SA_S7_PKT4_S5_PKT5_S4_PT6_21rocsparse_index_base_b
    .private_segment_fixed_size: 0
    .sgpr_count:     34
    .sgpr_spill_count: 0
    .symbol:         _ZN9rocsparseL22bsrxmvn_general_kernelILj64ELj8EfiiaafEEv20rocsparse_direction_NS_24const_host_device_scalarIT1_EET3_PKS5_PKT2_SA_S7_PKT4_S5_PKT5_S4_PT6_21rocsparse_index_base_b.kd
    .uniform_work_group_size: 1
    .uses_dynamic_stack: false
    .vgpr_count:     21
    .vgpr_spill_count: 0
    .wavefront_size: 32
    .workgroup_processor_mode: 1
  - .args:
      - .offset:         0
        .size:           4
        .value_kind:     by_value
      - .offset:         8
        .size:           8
        .value_kind:     by_value
      - .offset:         16
        .size:           4
        .value_kind:     by_value
      - .actual_access:  read_only
        .address_space:  global
        .offset:         24
        .size:           8
        .value_kind:     global_buffer
      - .actual_access:  read_only
        .address_space:  global
        .offset:         32
        .size:           8
        .value_kind:     global_buffer
      - .actual_access:  read_only
        .address_space:  global
        .offset:         40
        .size:           8
        .value_kind:     global_buffer
      - .actual_access:  read_only
        .address_space:  global
        .offset:         48
        .size:           8
        .value_kind:     global_buffer
      - .actual_access:  read_only
        .address_space:  global
        .offset:         56
        .size:           8
        .value_kind:     global_buffer
      - .offset:         64
        .size:           4
        .value_kind:     by_value
      - .actual_access:  read_only
        .address_space:  global
        .offset:         72
        .size:           8
        .value_kind:     global_buffer
      - .offset:         80
        .size:           8
        .value_kind:     by_value
      - .address_space:  global
        .offset:         88
        .size:           8
        .value_kind:     global_buffer
      - .offset:         96
        .size:           4
        .value_kind:     by_value
      - .offset:         100
        .size:           1
        .value_kind:     by_value
    .group_segment_fixed_size: 0
    .kernarg_segment_align: 8
    .kernarg_segment_size: 104
    .language:       OpenCL C
    .language_version:
      - 2
      - 0
    .max_flat_workgroup_size: 256
    .name:           _ZN9rocsparseL22bsrxmvn_general_kernelILj256ELj16EfiiaafEEv20rocsparse_direction_NS_24const_host_device_scalarIT1_EET3_PKS5_PKT2_SA_S7_PKT4_S5_PKT5_S4_PT6_21rocsparse_index_base_b
    .private_segment_fixed_size: 0
    .sgpr_count:     34
    .sgpr_spill_count: 0
    .symbol:         _ZN9rocsparseL22bsrxmvn_general_kernelILj256ELj16EfiiaafEEv20rocsparse_direction_NS_24const_host_device_scalarIT1_EET3_PKS5_PKT2_SA_S7_PKT4_S5_PKT5_S4_PT6_21rocsparse_index_base_b.kd
    .uniform_work_group_size: 1
    .uses_dynamic_stack: false
    .vgpr_count:     22
    .vgpr_spill_count: 0
    .wavefront_size: 32
    .workgroup_processor_mode: 1
  - .args:
      - .offset:         0
        .size:           4
        .value_kind:     by_value
      - .offset:         8
        .size:           8
        .value_kind:     by_value
      - .offset:         16
        .size:           4
        .value_kind:     by_value
      - .actual_access:  read_only
        .address_space:  global
        .offset:         24
        .size:           8
        .value_kind:     global_buffer
      - .actual_access:  read_only
        .address_space:  global
        .offset:         32
        .size:           8
        .value_kind:     global_buffer
      - .actual_access:  read_only
        .address_space:  global
        .offset:         40
        .size:           8
        .value_kind:     global_buffer
      - .actual_access:  read_only
        .address_space:  global
        .offset:         48
        .size:           8
        .value_kind:     global_buffer
      - .actual_access:  read_only
        .address_space:  global
        .offset:         56
        .size:           8
        .value_kind:     global_buffer
      - .offset:         64
        .size:           4
        .value_kind:     by_value
      - .actual_access:  read_only
        .address_space:  global
        .offset:         72
        .size:           8
        .value_kind:     global_buffer
      - .offset:         80
        .size:           8
        .value_kind:     by_value
      - .address_space:  global
        .offset:         88
        .size:           8
        .value_kind:     global_buffer
      - .offset:         96
        .size:           4
        .value_kind:     by_value
      - .offset:         100
        .size:           1
        .value_kind:     by_value
    .group_segment_fixed_size: 0
    .kernarg_segment_align: 8
    .kernarg_segment_size: 104
    .language:       OpenCL C
    .language_version:
      - 2
      - 0
    .max_flat_workgroup_size: 1024
    .name:           _ZN9rocsparseL22bsrxmvn_general_kernelILj1024ELj32EfiiaafEEv20rocsparse_direction_NS_24const_host_device_scalarIT1_EET3_PKS5_PKT2_SA_S7_PKT4_S5_PKT5_S4_PT6_21rocsparse_index_base_b
    .private_segment_fixed_size: 0
    .sgpr_count:     34
    .sgpr_spill_count: 0
    .symbol:         _ZN9rocsparseL22bsrxmvn_general_kernelILj1024ELj32EfiiaafEEv20rocsparse_direction_NS_24const_host_device_scalarIT1_EET3_PKS5_PKT2_SA_S7_PKT4_S5_PKT5_S4_PT6_21rocsparse_index_base_b.kd
    .uniform_work_group_size: 1
    .uses_dynamic_stack: false
    .vgpr_count:     23
    .vgpr_spill_count: 0
    .wavefront_size: 32
    .workgroup_processor_mode: 1
  - .args:
      - .offset:         0
        .size:           4
        .value_kind:     by_value
      - .offset:         8
        .size:           8
        .value_kind:     by_value
      - .offset:         16
        .size:           4
        .value_kind:     by_value
      - .actual_access:  read_only
        .address_space:  global
        .offset:         24
        .size:           8
        .value_kind:     global_buffer
      - .actual_access:  read_only
        .address_space:  global
        .offset:         32
        .size:           8
        .value_kind:     global_buffer
      - .actual_access:  read_only
        .address_space:  global
        .offset:         40
        .size:           8
        .value_kind:     global_buffer
      - .actual_access:  read_only
        .address_space:  global
        .offset:         48
        .size:           8
        .value_kind:     global_buffer
      - .actual_access:  read_only
        .address_space:  global
        .offset:         56
        .size:           8
        .value_kind:     global_buffer
      - .offset:         64
        .size:           4
        .value_kind:     by_value
      - .actual_access:  read_only
        .address_space:  global
        .offset:         72
        .size:           8
        .value_kind:     global_buffer
      - .offset:         80
        .size:           8
        .value_kind:     by_value
      - .address_space:  global
        .offset:         88
        .size:           8
        .value_kind:     global_buffer
      - .offset:         96
        .size:           4
        .value_kind:     by_value
      - .offset:         100
        .size:           1
        .value_kind:     by_value
    .group_segment_fixed_size: 0
    .kernarg_segment_align: 8
    .kernarg_segment_size: 104
    .language:       OpenCL C
    .language_version:
      - 2
      - 0
    .max_flat_workgroup_size: 64
    .name:           _ZN9rocsparseL22bsrxmvn_general_kernelILj64ELj8EfliaafEEv20rocsparse_direction_NS_24const_host_device_scalarIT1_EET3_PKS5_PKT2_SA_S7_PKT4_S5_PKT5_S4_PT6_21rocsparse_index_base_b
    .private_segment_fixed_size: 0
    .sgpr_count:     38
    .sgpr_spill_count: 0
    .symbol:         _ZN9rocsparseL22bsrxmvn_general_kernelILj64ELj8EfliaafEEv20rocsparse_direction_NS_24const_host_device_scalarIT1_EET3_PKS5_PKT2_SA_S7_PKT4_S5_PKT5_S4_PT6_21rocsparse_index_base_b.kd
    .uniform_work_group_size: 1
    .uses_dynamic_stack: false
    .vgpr_count:     21
    .vgpr_spill_count: 0
    .wavefront_size: 32
    .workgroup_processor_mode: 1
  - .args:
      - .offset:         0
        .size:           4
        .value_kind:     by_value
      - .offset:         8
        .size:           8
        .value_kind:     by_value
      - .offset:         16
        .size:           4
        .value_kind:     by_value
      - .actual_access:  read_only
        .address_space:  global
        .offset:         24
        .size:           8
        .value_kind:     global_buffer
      - .actual_access:  read_only
        .address_space:  global
        .offset:         32
        .size:           8
        .value_kind:     global_buffer
      - .actual_access:  read_only
        .address_space:  global
        .offset:         40
        .size:           8
        .value_kind:     global_buffer
      - .actual_access:  read_only
        .address_space:  global
        .offset:         48
        .size:           8
        .value_kind:     global_buffer
      - .actual_access:  read_only
        .address_space:  global
        .offset:         56
        .size:           8
        .value_kind:     global_buffer
      - .offset:         64
        .size:           4
        .value_kind:     by_value
      - .actual_access:  read_only
        .address_space:  global
        .offset:         72
        .size:           8
        .value_kind:     global_buffer
      - .offset:         80
        .size:           8
        .value_kind:     by_value
      - .address_space:  global
        .offset:         88
        .size:           8
        .value_kind:     global_buffer
      - .offset:         96
        .size:           4
        .value_kind:     by_value
      - .offset:         100
        .size:           1
        .value_kind:     by_value
    .group_segment_fixed_size: 0
    .kernarg_segment_align: 8
    .kernarg_segment_size: 104
    .language:       OpenCL C
    .language_version:
      - 2
      - 0
    .max_flat_workgroup_size: 256
    .name:           _ZN9rocsparseL22bsrxmvn_general_kernelILj256ELj16EfliaafEEv20rocsparse_direction_NS_24const_host_device_scalarIT1_EET3_PKS5_PKT2_SA_S7_PKT4_S5_PKT5_S4_PT6_21rocsparse_index_base_b
    .private_segment_fixed_size: 0
    .sgpr_count:     38
    .sgpr_spill_count: 0
    .symbol:         _ZN9rocsparseL22bsrxmvn_general_kernelILj256ELj16EfliaafEEv20rocsparse_direction_NS_24const_host_device_scalarIT1_EET3_PKS5_PKT2_SA_S7_PKT4_S5_PKT5_S4_PT6_21rocsparse_index_base_b.kd
    .uniform_work_group_size: 1
    .uses_dynamic_stack: false
    .vgpr_count:     22
    .vgpr_spill_count: 0
    .wavefront_size: 32
    .workgroup_processor_mode: 1
  - .args:
      - .offset:         0
        .size:           4
        .value_kind:     by_value
      - .offset:         8
        .size:           8
        .value_kind:     by_value
      - .offset:         16
        .size:           4
        .value_kind:     by_value
      - .actual_access:  read_only
        .address_space:  global
        .offset:         24
        .size:           8
        .value_kind:     global_buffer
      - .actual_access:  read_only
        .address_space:  global
        .offset:         32
        .size:           8
        .value_kind:     global_buffer
      - .actual_access:  read_only
        .address_space:  global
        .offset:         40
        .size:           8
        .value_kind:     global_buffer
      - .actual_access:  read_only
        .address_space:  global
        .offset:         48
        .size:           8
        .value_kind:     global_buffer
      - .actual_access:  read_only
        .address_space:  global
        .offset:         56
        .size:           8
        .value_kind:     global_buffer
      - .offset:         64
        .size:           4
        .value_kind:     by_value
      - .actual_access:  read_only
        .address_space:  global
        .offset:         72
        .size:           8
        .value_kind:     global_buffer
      - .offset:         80
        .size:           8
        .value_kind:     by_value
      - .address_space:  global
        .offset:         88
        .size:           8
        .value_kind:     global_buffer
      - .offset:         96
        .size:           4
        .value_kind:     by_value
      - .offset:         100
        .size:           1
        .value_kind:     by_value
    .group_segment_fixed_size: 0
    .kernarg_segment_align: 8
    .kernarg_segment_size: 104
    .language:       OpenCL C
    .language_version:
      - 2
      - 0
    .max_flat_workgroup_size: 1024
    .name:           _ZN9rocsparseL22bsrxmvn_general_kernelILj1024ELj32EfliaafEEv20rocsparse_direction_NS_24const_host_device_scalarIT1_EET3_PKS5_PKT2_SA_S7_PKT4_S5_PKT5_S4_PT6_21rocsparse_index_base_b
    .private_segment_fixed_size: 0
    .sgpr_count:     38
    .sgpr_spill_count: 0
    .symbol:         _ZN9rocsparseL22bsrxmvn_general_kernelILj1024ELj32EfliaafEEv20rocsparse_direction_NS_24const_host_device_scalarIT1_EET3_PKS5_PKT2_SA_S7_PKT4_S5_PKT5_S4_PT6_21rocsparse_index_base_b.kd
    .uniform_work_group_size: 1
    .uses_dynamic_stack: false
    .vgpr_count:     23
    .vgpr_spill_count: 0
    .wavefront_size: 32
    .workgroup_processor_mode: 1
  - .args:
      - .offset:         0
        .size:           4
        .value_kind:     by_value
      - .offset:         8
        .size:           8
        .value_kind:     by_value
      - .offset:         16
        .size:           8
        .value_kind:     by_value
      - .actual_access:  read_only
        .address_space:  global
        .offset:         24
        .size:           8
        .value_kind:     global_buffer
      - .actual_access:  read_only
        .address_space:  global
        .offset:         32
        .size:           8
        .value_kind:     global_buffer
      - .actual_access:  read_only
        .address_space:  global
        .offset:         40
        .size:           8
        .value_kind:     global_buffer
      - .actual_access:  read_only
        .address_space:  global
        .offset:         48
        .size:           8
        .value_kind:     global_buffer
      - .actual_access:  read_only
        .address_space:  global
        .offset:         56
        .size:           8
        .value_kind:     global_buffer
      - .offset:         64
        .size:           8
        .value_kind:     by_value
      - .actual_access:  read_only
        .address_space:  global
        .offset:         72
        .size:           8
        .value_kind:     global_buffer
      - .offset:         80
        .size:           8
        .value_kind:     by_value
      - .address_space:  global
        .offset:         88
        .size:           8
        .value_kind:     global_buffer
      - .offset:         96
        .size:           4
        .value_kind:     by_value
      - .offset:         100
        .size:           1
        .value_kind:     by_value
    .group_segment_fixed_size: 0
    .kernarg_segment_align: 8
    .kernarg_segment_size: 104
    .language:       OpenCL C
    .language_version:
      - 2
      - 0
    .max_flat_workgroup_size: 64
    .name:           _ZN9rocsparseL22bsrxmvn_general_kernelILj64ELj8EfllaafEEv20rocsparse_direction_NS_24const_host_device_scalarIT1_EET3_PKS5_PKT2_SA_S7_PKT4_S5_PKT5_S4_PT6_21rocsparse_index_base_b
    .private_segment_fixed_size: 0
    .sgpr_count:     39
    .sgpr_spill_count: 0
    .symbol:         _ZN9rocsparseL22bsrxmvn_general_kernelILj64ELj8EfllaafEEv20rocsparse_direction_NS_24const_host_device_scalarIT1_EET3_PKS5_PKT2_SA_S7_PKT4_S5_PKT5_S4_PT6_21rocsparse_index_base_b.kd
    .uniform_work_group_size: 1
    .uses_dynamic_stack: false
    .vgpr_count:     18
    .vgpr_spill_count: 0
    .wavefront_size: 32
    .workgroup_processor_mode: 1
  - .args:
      - .offset:         0
        .size:           4
        .value_kind:     by_value
      - .offset:         8
        .size:           8
        .value_kind:     by_value
      - .offset:         16
        .size:           8
        .value_kind:     by_value
      - .actual_access:  read_only
        .address_space:  global
        .offset:         24
        .size:           8
        .value_kind:     global_buffer
      - .actual_access:  read_only
        .address_space:  global
        .offset:         32
        .size:           8
        .value_kind:     global_buffer
      - .actual_access:  read_only
        .address_space:  global
        .offset:         40
        .size:           8
        .value_kind:     global_buffer
      - .actual_access:  read_only
        .address_space:  global
        .offset:         48
        .size:           8
        .value_kind:     global_buffer
      - .actual_access:  read_only
        .address_space:  global
        .offset:         56
        .size:           8
        .value_kind:     global_buffer
      - .offset:         64
        .size:           8
        .value_kind:     by_value
      - .actual_access:  read_only
        .address_space:  global
        .offset:         72
        .size:           8
        .value_kind:     global_buffer
      - .offset:         80
        .size:           8
        .value_kind:     by_value
      - .address_space:  global
        .offset:         88
        .size:           8
        .value_kind:     global_buffer
      - .offset:         96
        .size:           4
        .value_kind:     by_value
      - .offset:         100
        .size:           1
        .value_kind:     by_value
    .group_segment_fixed_size: 0
    .kernarg_segment_align: 8
    .kernarg_segment_size: 104
    .language:       OpenCL C
    .language_version:
      - 2
      - 0
    .max_flat_workgroup_size: 256
    .name:           _ZN9rocsparseL22bsrxmvn_general_kernelILj256ELj16EfllaafEEv20rocsparse_direction_NS_24const_host_device_scalarIT1_EET3_PKS5_PKT2_SA_S7_PKT4_S5_PKT5_S4_PT6_21rocsparse_index_base_b
    .private_segment_fixed_size: 0
    .sgpr_count:     39
    .sgpr_spill_count: 0
    .symbol:         _ZN9rocsparseL22bsrxmvn_general_kernelILj256ELj16EfllaafEEv20rocsparse_direction_NS_24const_host_device_scalarIT1_EET3_PKS5_PKT2_SA_S7_PKT4_S5_PKT5_S4_PT6_21rocsparse_index_base_b.kd
    .uniform_work_group_size: 1
    .uses_dynamic_stack: false
    .vgpr_count:     19
    .vgpr_spill_count: 0
    .wavefront_size: 32
    .workgroup_processor_mode: 1
  - .args:
      - .offset:         0
        .size:           4
        .value_kind:     by_value
      - .offset:         8
        .size:           8
        .value_kind:     by_value
      - .offset:         16
        .size:           8
        .value_kind:     by_value
      - .actual_access:  read_only
        .address_space:  global
        .offset:         24
        .size:           8
        .value_kind:     global_buffer
      - .actual_access:  read_only
        .address_space:  global
        .offset:         32
        .size:           8
        .value_kind:     global_buffer
      - .actual_access:  read_only
        .address_space:  global
        .offset:         40
        .size:           8
        .value_kind:     global_buffer
      - .actual_access:  read_only
        .address_space:  global
        .offset:         48
        .size:           8
        .value_kind:     global_buffer
      - .actual_access:  read_only
        .address_space:  global
        .offset:         56
        .size:           8
        .value_kind:     global_buffer
      - .offset:         64
        .size:           8
        .value_kind:     by_value
      - .actual_access:  read_only
        .address_space:  global
        .offset:         72
        .size:           8
        .value_kind:     global_buffer
      - .offset:         80
        .size:           8
        .value_kind:     by_value
      - .address_space:  global
        .offset:         88
        .size:           8
        .value_kind:     global_buffer
      - .offset:         96
        .size:           4
        .value_kind:     by_value
      - .offset:         100
        .size:           1
        .value_kind:     by_value
    .group_segment_fixed_size: 0
    .kernarg_segment_align: 8
    .kernarg_segment_size: 104
    .language:       OpenCL C
    .language_version:
      - 2
      - 0
    .max_flat_workgroup_size: 1024
    .name:           _ZN9rocsparseL22bsrxmvn_general_kernelILj1024ELj32EfllaafEEv20rocsparse_direction_NS_24const_host_device_scalarIT1_EET3_PKS5_PKT2_SA_S7_PKT4_S5_PKT5_S4_PT6_21rocsparse_index_base_b
    .private_segment_fixed_size: 0
    .sgpr_count:     39
    .sgpr_spill_count: 0
    .symbol:         _ZN9rocsparseL22bsrxmvn_general_kernelILj1024ELj32EfllaafEEv20rocsparse_direction_NS_24const_host_device_scalarIT1_EET3_PKS5_PKT2_SA_S7_PKT4_S5_PKT5_S4_PT6_21rocsparse_index_base_b.kd
    .uniform_work_group_size: 1
    .uses_dynamic_stack: false
    .vgpr_count:     20
    .vgpr_spill_count: 0
    .wavefront_size: 32
    .workgroup_processor_mode: 1
  - .args:
      - .offset:         0
        .size:           4
        .value_kind:     by_value
      - .offset:         8
        .size:           8
        .value_kind:     by_value
      - .offset:         16
        .size:           4
        .value_kind:     by_value
      - .actual_access:  read_only
        .address_space:  global
        .offset:         24
        .size:           8
        .value_kind:     global_buffer
      - .actual_access:  read_only
        .address_space:  global
        .offset:         32
        .size:           8
        .value_kind:     global_buffer
      - .actual_access:  read_only
        .address_space:  global
        .offset:         40
        .size:           8
        .value_kind:     global_buffer
      - .actual_access:  read_only
        .address_space:  global
        .offset:         48
        .size:           8
        .value_kind:     global_buffer
      - .actual_access:  read_only
        .address_space:  global
        .offset:         56
        .size:           8
        .value_kind:     global_buffer
      - .offset:         64
        .size:           4
        .value_kind:     by_value
      - .actual_access:  read_only
        .address_space:  global
        .offset:         72
        .size:           8
        .value_kind:     global_buffer
      - .offset:         80
        .size:           8
        .value_kind:     by_value
      - .address_space:  global
        .offset:         88
        .size:           8
        .value_kind:     global_buffer
      - .offset:         96
        .size:           4
        .value_kind:     by_value
      - .offset:         100
        .size:           1
        .value_kind:     by_value
    .group_segment_fixed_size: 0
    .kernarg_segment_align: 8
    .kernarg_segment_size: 104
    .language:       OpenCL C
    .language_version:
      - 2
      - 0
    .max_flat_workgroup_size: 64
    .name:           _ZN9rocsparseL22bsrxmvn_general_kernelILj64ELj8EfiiDF16_DF16_fEEv20rocsparse_direction_NS_24const_host_device_scalarIT1_EET3_PKS5_PKT2_SA_S7_PKT4_S5_PKT5_S4_PT6_21rocsparse_index_base_b
    .private_segment_fixed_size: 0
    .sgpr_count:     34
    .sgpr_spill_count: 0
    .symbol:         _ZN9rocsparseL22bsrxmvn_general_kernelILj64ELj8EfiiDF16_DF16_fEEv20rocsparse_direction_NS_24const_host_device_scalarIT1_EET3_PKS5_PKT2_SA_S7_PKT4_S5_PKT5_S4_PT6_21rocsparse_index_base_b.kd
    .uniform_work_group_size: 1
    .uses_dynamic_stack: false
    .vgpr_count:     21
    .vgpr_spill_count: 0
    .wavefront_size: 32
    .workgroup_processor_mode: 1
  - .args:
      - .offset:         0
        .size:           4
        .value_kind:     by_value
      - .offset:         8
        .size:           8
        .value_kind:     by_value
      - .offset:         16
        .size:           4
        .value_kind:     by_value
      - .actual_access:  read_only
        .address_space:  global
        .offset:         24
        .size:           8
        .value_kind:     global_buffer
      - .actual_access:  read_only
        .address_space:  global
        .offset:         32
        .size:           8
        .value_kind:     global_buffer
      - .actual_access:  read_only
        .address_space:  global
        .offset:         40
        .size:           8
        .value_kind:     global_buffer
      - .actual_access:  read_only
        .address_space:  global
        .offset:         48
        .size:           8
        .value_kind:     global_buffer
      - .actual_access:  read_only
        .address_space:  global
        .offset:         56
        .size:           8
        .value_kind:     global_buffer
      - .offset:         64
        .size:           4
        .value_kind:     by_value
      - .actual_access:  read_only
        .address_space:  global
        .offset:         72
        .size:           8
        .value_kind:     global_buffer
      - .offset:         80
        .size:           8
        .value_kind:     by_value
      - .address_space:  global
        .offset:         88
        .size:           8
        .value_kind:     global_buffer
      - .offset:         96
        .size:           4
        .value_kind:     by_value
      - .offset:         100
        .size:           1
        .value_kind:     by_value
    .group_segment_fixed_size: 0
    .kernarg_segment_align: 8
    .kernarg_segment_size: 104
    .language:       OpenCL C
    .language_version:
      - 2
      - 0
    .max_flat_workgroup_size: 256
    .name:           _ZN9rocsparseL22bsrxmvn_general_kernelILj256ELj16EfiiDF16_DF16_fEEv20rocsparse_direction_NS_24const_host_device_scalarIT1_EET3_PKS5_PKT2_SA_S7_PKT4_S5_PKT5_S4_PT6_21rocsparse_index_base_b
    .private_segment_fixed_size: 0
    .sgpr_count:     34
    .sgpr_spill_count: 0
    .symbol:         _ZN9rocsparseL22bsrxmvn_general_kernelILj256ELj16EfiiDF16_DF16_fEEv20rocsparse_direction_NS_24const_host_device_scalarIT1_EET3_PKS5_PKT2_SA_S7_PKT4_S5_PKT5_S4_PT6_21rocsparse_index_base_b.kd
    .uniform_work_group_size: 1
    .uses_dynamic_stack: false
    .vgpr_count:     22
    .vgpr_spill_count: 0
    .wavefront_size: 32
    .workgroup_processor_mode: 1
  - .args:
      - .offset:         0
        .size:           4
        .value_kind:     by_value
      - .offset:         8
        .size:           8
        .value_kind:     by_value
      - .offset:         16
        .size:           4
        .value_kind:     by_value
      - .actual_access:  read_only
        .address_space:  global
        .offset:         24
        .size:           8
        .value_kind:     global_buffer
      - .actual_access:  read_only
        .address_space:  global
        .offset:         32
        .size:           8
        .value_kind:     global_buffer
      - .actual_access:  read_only
        .address_space:  global
        .offset:         40
        .size:           8
        .value_kind:     global_buffer
      - .actual_access:  read_only
        .address_space:  global
        .offset:         48
        .size:           8
        .value_kind:     global_buffer
      - .actual_access:  read_only
        .address_space:  global
        .offset:         56
        .size:           8
        .value_kind:     global_buffer
      - .offset:         64
        .size:           4
        .value_kind:     by_value
      - .actual_access:  read_only
        .address_space:  global
        .offset:         72
        .size:           8
        .value_kind:     global_buffer
      - .offset:         80
        .size:           8
        .value_kind:     by_value
      - .address_space:  global
        .offset:         88
        .size:           8
        .value_kind:     global_buffer
      - .offset:         96
        .size:           4
        .value_kind:     by_value
      - .offset:         100
        .size:           1
        .value_kind:     by_value
    .group_segment_fixed_size: 0
    .kernarg_segment_align: 8
    .kernarg_segment_size: 104
    .language:       OpenCL C
    .language_version:
      - 2
      - 0
    .max_flat_workgroup_size: 1024
    .name:           _ZN9rocsparseL22bsrxmvn_general_kernelILj1024ELj32EfiiDF16_DF16_fEEv20rocsparse_direction_NS_24const_host_device_scalarIT1_EET3_PKS5_PKT2_SA_S7_PKT4_S5_PKT5_S4_PT6_21rocsparse_index_base_b
    .private_segment_fixed_size: 0
    .sgpr_count:     34
    .sgpr_spill_count: 0
    .symbol:         _ZN9rocsparseL22bsrxmvn_general_kernelILj1024ELj32EfiiDF16_DF16_fEEv20rocsparse_direction_NS_24const_host_device_scalarIT1_EET3_PKS5_PKT2_SA_S7_PKT4_S5_PKT5_S4_PT6_21rocsparse_index_base_b.kd
    .uniform_work_group_size: 1
    .uses_dynamic_stack: false
    .vgpr_count:     23
    .vgpr_spill_count: 0
    .wavefront_size: 32
    .workgroup_processor_mode: 1
  - .args:
      - .offset:         0
        .size:           4
        .value_kind:     by_value
      - .offset:         8
        .size:           8
        .value_kind:     by_value
      - .offset:         16
        .size:           4
        .value_kind:     by_value
      - .actual_access:  read_only
        .address_space:  global
        .offset:         24
        .size:           8
        .value_kind:     global_buffer
      - .actual_access:  read_only
        .address_space:  global
        .offset:         32
        .size:           8
        .value_kind:     global_buffer
      - .actual_access:  read_only
        .address_space:  global
        .offset:         40
        .size:           8
        .value_kind:     global_buffer
      - .actual_access:  read_only
        .address_space:  global
        .offset:         48
        .size:           8
        .value_kind:     global_buffer
      - .actual_access:  read_only
        .address_space:  global
        .offset:         56
        .size:           8
        .value_kind:     global_buffer
      - .offset:         64
        .size:           4
        .value_kind:     by_value
      - .actual_access:  read_only
        .address_space:  global
        .offset:         72
        .size:           8
        .value_kind:     global_buffer
      - .offset:         80
        .size:           8
        .value_kind:     by_value
      - .address_space:  global
        .offset:         88
        .size:           8
        .value_kind:     global_buffer
      - .offset:         96
        .size:           4
        .value_kind:     by_value
      - .offset:         100
        .size:           1
        .value_kind:     by_value
    .group_segment_fixed_size: 0
    .kernarg_segment_align: 8
    .kernarg_segment_size: 104
    .language:       OpenCL C
    .language_version:
      - 2
      - 0
    .max_flat_workgroup_size: 64
    .name:           _ZN9rocsparseL22bsrxmvn_general_kernelILj64ELj8EfliDF16_DF16_fEEv20rocsparse_direction_NS_24const_host_device_scalarIT1_EET3_PKS5_PKT2_SA_S7_PKT4_S5_PKT5_S4_PT6_21rocsparse_index_base_b
    .private_segment_fixed_size: 0
    .sgpr_count:     38
    .sgpr_spill_count: 0
    .symbol:         _ZN9rocsparseL22bsrxmvn_general_kernelILj64ELj8EfliDF16_DF16_fEEv20rocsparse_direction_NS_24const_host_device_scalarIT1_EET3_PKS5_PKT2_SA_S7_PKT4_S5_PKT5_S4_PT6_21rocsparse_index_base_b.kd
    .uniform_work_group_size: 1
    .uses_dynamic_stack: false
    .vgpr_count:     21
    .vgpr_spill_count: 0
    .wavefront_size: 32
    .workgroup_processor_mode: 1
  - .args:
      - .offset:         0
        .size:           4
        .value_kind:     by_value
      - .offset:         8
        .size:           8
        .value_kind:     by_value
      - .offset:         16
        .size:           4
        .value_kind:     by_value
      - .actual_access:  read_only
        .address_space:  global
        .offset:         24
        .size:           8
        .value_kind:     global_buffer
      - .actual_access:  read_only
        .address_space:  global
        .offset:         32
        .size:           8
        .value_kind:     global_buffer
      - .actual_access:  read_only
        .address_space:  global
        .offset:         40
        .size:           8
        .value_kind:     global_buffer
      - .actual_access:  read_only
        .address_space:  global
        .offset:         48
        .size:           8
        .value_kind:     global_buffer
      - .actual_access:  read_only
        .address_space:  global
        .offset:         56
        .size:           8
        .value_kind:     global_buffer
      - .offset:         64
        .size:           4
        .value_kind:     by_value
      - .actual_access:  read_only
        .address_space:  global
        .offset:         72
        .size:           8
        .value_kind:     global_buffer
      - .offset:         80
        .size:           8
        .value_kind:     by_value
      - .address_space:  global
        .offset:         88
        .size:           8
        .value_kind:     global_buffer
      - .offset:         96
        .size:           4
        .value_kind:     by_value
      - .offset:         100
        .size:           1
        .value_kind:     by_value
    .group_segment_fixed_size: 0
    .kernarg_segment_align: 8
    .kernarg_segment_size: 104
    .language:       OpenCL C
    .language_version:
      - 2
      - 0
    .max_flat_workgroup_size: 256
    .name:           _ZN9rocsparseL22bsrxmvn_general_kernelILj256ELj16EfliDF16_DF16_fEEv20rocsparse_direction_NS_24const_host_device_scalarIT1_EET3_PKS5_PKT2_SA_S7_PKT4_S5_PKT5_S4_PT6_21rocsparse_index_base_b
    .private_segment_fixed_size: 0
    .sgpr_count:     38
    .sgpr_spill_count: 0
    .symbol:         _ZN9rocsparseL22bsrxmvn_general_kernelILj256ELj16EfliDF16_DF16_fEEv20rocsparse_direction_NS_24const_host_device_scalarIT1_EET3_PKS5_PKT2_SA_S7_PKT4_S5_PKT5_S4_PT6_21rocsparse_index_base_b.kd
    .uniform_work_group_size: 1
    .uses_dynamic_stack: false
    .vgpr_count:     22
    .vgpr_spill_count: 0
    .wavefront_size: 32
    .workgroup_processor_mode: 1
  - .args:
      - .offset:         0
        .size:           4
        .value_kind:     by_value
      - .offset:         8
        .size:           8
        .value_kind:     by_value
      - .offset:         16
        .size:           4
        .value_kind:     by_value
      - .actual_access:  read_only
        .address_space:  global
        .offset:         24
        .size:           8
        .value_kind:     global_buffer
      - .actual_access:  read_only
        .address_space:  global
        .offset:         32
        .size:           8
        .value_kind:     global_buffer
      - .actual_access:  read_only
        .address_space:  global
        .offset:         40
        .size:           8
        .value_kind:     global_buffer
      - .actual_access:  read_only
        .address_space:  global
        .offset:         48
        .size:           8
        .value_kind:     global_buffer
      - .actual_access:  read_only
        .address_space:  global
        .offset:         56
        .size:           8
        .value_kind:     global_buffer
      - .offset:         64
        .size:           4
        .value_kind:     by_value
      - .actual_access:  read_only
        .address_space:  global
        .offset:         72
        .size:           8
        .value_kind:     global_buffer
      - .offset:         80
        .size:           8
        .value_kind:     by_value
      - .address_space:  global
        .offset:         88
        .size:           8
        .value_kind:     global_buffer
      - .offset:         96
        .size:           4
        .value_kind:     by_value
      - .offset:         100
        .size:           1
        .value_kind:     by_value
    .group_segment_fixed_size: 0
    .kernarg_segment_align: 8
    .kernarg_segment_size: 104
    .language:       OpenCL C
    .language_version:
      - 2
      - 0
    .max_flat_workgroup_size: 1024
    .name:           _ZN9rocsparseL22bsrxmvn_general_kernelILj1024ELj32EfliDF16_DF16_fEEv20rocsparse_direction_NS_24const_host_device_scalarIT1_EET3_PKS5_PKT2_SA_S7_PKT4_S5_PKT5_S4_PT6_21rocsparse_index_base_b
    .private_segment_fixed_size: 0
    .sgpr_count:     38
    .sgpr_spill_count: 0
    .symbol:         _ZN9rocsparseL22bsrxmvn_general_kernelILj1024ELj32EfliDF16_DF16_fEEv20rocsparse_direction_NS_24const_host_device_scalarIT1_EET3_PKS5_PKT2_SA_S7_PKT4_S5_PKT5_S4_PT6_21rocsparse_index_base_b.kd
    .uniform_work_group_size: 1
    .uses_dynamic_stack: false
    .vgpr_count:     23
    .vgpr_spill_count: 0
    .wavefront_size: 32
    .workgroup_processor_mode: 1
  - .args:
      - .offset:         0
        .size:           4
        .value_kind:     by_value
      - .offset:         8
        .size:           8
        .value_kind:     by_value
      - .offset:         16
        .size:           8
        .value_kind:     by_value
      - .actual_access:  read_only
        .address_space:  global
        .offset:         24
        .size:           8
        .value_kind:     global_buffer
      - .actual_access:  read_only
        .address_space:  global
        .offset:         32
        .size:           8
        .value_kind:     global_buffer
      - .actual_access:  read_only
        .address_space:  global
        .offset:         40
        .size:           8
        .value_kind:     global_buffer
      - .actual_access:  read_only
        .address_space:  global
        .offset:         48
        .size:           8
        .value_kind:     global_buffer
      - .actual_access:  read_only
        .address_space:  global
        .offset:         56
        .size:           8
        .value_kind:     global_buffer
      - .offset:         64
        .size:           8
        .value_kind:     by_value
      - .actual_access:  read_only
        .address_space:  global
        .offset:         72
        .size:           8
        .value_kind:     global_buffer
      - .offset:         80
        .size:           8
        .value_kind:     by_value
      - .address_space:  global
        .offset:         88
        .size:           8
        .value_kind:     global_buffer
      - .offset:         96
        .size:           4
        .value_kind:     by_value
      - .offset:         100
        .size:           1
        .value_kind:     by_value
    .group_segment_fixed_size: 0
    .kernarg_segment_align: 8
    .kernarg_segment_size: 104
    .language:       OpenCL C
    .language_version:
      - 2
      - 0
    .max_flat_workgroup_size: 64
    .name:           _ZN9rocsparseL22bsrxmvn_general_kernelILj64ELj8EfllDF16_DF16_fEEv20rocsparse_direction_NS_24const_host_device_scalarIT1_EET3_PKS5_PKT2_SA_S7_PKT4_S5_PKT5_S4_PT6_21rocsparse_index_base_b
    .private_segment_fixed_size: 0
    .sgpr_count:     38
    .sgpr_spill_count: 0
    .symbol:         _ZN9rocsparseL22bsrxmvn_general_kernelILj64ELj8EfllDF16_DF16_fEEv20rocsparse_direction_NS_24const_host_device_scalarIT1_EET3_PKS5_PKT2_SA_S7_PKT4_S5_PKT5_S4_PT6_21rocsparse_index_base_b.kd
    .uniform_work_group_size: 1
    .uses_dynamic_stack: false
    .vgpr_count:     22
    .vgpr_spill_count: 0
    .wavefront_size: 32
    .workgroup_processor_mode: 1
  - .args:
      - .offset:         0
        .size:           4
        .value_kind:     by_value
      - .offset:         8
        .size:           8
        .value_kind:     by_value
      - .offset:         16
        .size:           8
        .value_kind:     by_value
      - .actual_access:  read_only
        .address_space:  global
        .offset:         24
        .size:           8
        .value_kind:     global_buffer
      - .actual_access:  read_only
        .address_space:  global
        .offset:         32
        .size:           8
        .value_kind:     global_buffer
      - .actual_access:  read_only
        .address_space:  global
        .offset:         40
        .size:           8
        .value_kind:     global_buffer
      - .actual_access:  read_only
        .address_space:  global
        .offset:         48
        .size:           8
        .value_kind:     global_buffer
      - .actual_access:  read_only
        .address_space:  global
        .offset:         56
        .size:           8
        .value_kind:     global_buffer
      - .offset:         64
        .size:           8
        .value_kind:     by_value
      - .actual_access:  read_only
        .address_space:  global
        .offset:         72
        .size:           8
        .value_kind:     global_buffer
      - .offset:         80
        .size:           8
        .value_kind:     by_value
      - .address_space:  global
        .offset:         88
        .size:           8
        .value_kind:     global_buffer
      - .offset:         96
        .size:           4
        .value_kind:     by_value
      - .offset:         100
        .size:           1
        .value_kind:     by_value
    .group_segment_fixed_size: 0
    .kernarg_segment_align: 8
    .kernarg_segment_size: 104
    .language:       OpenCL C
    .language_version:
      - 2
      - 0
    .max_flat_workgroup_size: 256
    .name:           _ZN9rocsparseL22bsrxmvn_general_kernelILj256ELj16EfllDF16_DF16_fEEv20rocsparse_direction_NS_24const_host_device_scalarIT1_EET3_PKS5_PKT2_SA_S7_PKT4_S5_PKT5_S4_PT6_21rocsparse_index_base_b
    .private_segment_fixed_size: 0
    .sgpr_count:     38
    .sgpr_spill_count: 0
    .symbol:         _ZN9rocsparseL22bsrxmvn_general_kernelILj256ELj16EfllDF16_DF16_fEEv20rocsparse_direction_NS_24const_host_device_scalarIT1_EET3_PKS5_PKT2_SA_S7_PKT4_S5_PKT5_S4_PT6_21rocsparse_index_base_b.kd
    .uniform_work_group_size: 1
    .uses_dynamic_stack: false
    .vgpr_count:     23
    .vgpr_spill_count: 0
    .wavefront_size: 32
    .workgroup_processor_mode: 1
  - .args:
      - .offset:         0
        .size:           4
        .value_kind:     by_value
      - .offset:         8
        .size:           8
        .value_kind:     by_value
      - .offset:         16
        .size:           8
        .value_kind:     by_value
      - .actual_access:  read_only
        .address_space:  global
        .offset:         24
        .size:           8
        .value_kind:     global_buffer
      - .actual_access:  read_only
        .address_space:  global
        .offset:         32
        .size:           8
        .value_kind:     global_buffer
      - .actual_access:  read_only
        .address_space:  global
        .offset:         40
        .size:           8
        .value_kind:     global_buffer
      - .actual_access:  read_only
        .address_space:  global
        .offset:         48
        .size:           8
        .value_kind:     global_buffer
      - .actual_access:  read_only
        .address_space:  global
        .offset:         56
        .size:           8
        .value_kind:     global_buffer
      - .offset:         64
        .size:           8
        .value_kind:     by_value
      - .actual_access:  read_only
        .address_space:  global
        .offset:         72
        .size:           8
        .value_kind:     global_buffer
      - .offset:         80
        .size:           8
        .value_kind:     by_value
      - .address_space:  global
        .offset:         88
        .size:           8
        .value_kind:     global_buffer
      - .offset:         96
        .size:           4
        .value_kind:     by_value
      - .offset:         100
        .size:           1
        .value_kind:     by_value
    .group_segment_fixed_size: 0
    .kernarg_segment_align: 8
    .kernarg_segment_size: 104
    .language:       OpenCL C
    .language_version:
      - 2
      - 0
    .max_flat_workgroup_size: 1024
    .name:           _ZN9rocsparseL22bsrxmvn_general_kernelILj1024ELj32EfllDF16_DF16_fEEv20rocsparse_direction_NS_24const_host_device_scalarIT1_EET3_PKS5_PKT2_SA_S7_PKT4_S5_PKT5_S4_PT6_21rocsparse_index_base_b
    .private_segment_fixed_size: 0
    .sgpr_count:     38
    .sgpr_spill_count: 0
    .symbol:         _ZN9rocsparseL22bsrxmvn_general_kernelILj1024ELj32EfllDF16_DF16_fEEv20rocsparse_direction_NS_24const_host_device_scalarIT1_EET3_PKS5_PKT2_SA_S7_PKT4_S5_PKT5_S4_PT6_21rocsparse_index_base_b.kd
    .uniform_work_group_size: 1
    .uses_dynamic_stack: false
    .vgpr_count:     24
    .vgpr_spill_count: 0
    .wavefront_size: 32
    .workgroup_processor_mode: 1
  - .args:
      - .offset:         0
        .size:           4
        .value_kind:     by_value
      - .offset:         8
        .size:           8
        .value_kind:     by_value
      - .offset:         16
        .size:           4
        .value_kind:     by_value
      - .actual_access:  read_only
        .address_space:  global
        .offset:         24
        .size:           8
        .value_kind:     global_buffer
      - .actual_access:  read_only
        .address_space:  global
        .offset:         32
        .size:           8
        .value_kind:     global_buffer
      - .actual_access:  read_only
        .address_space:  global
        .offset:         40
        .size:           8
        .value_kind:     global_buffer
      - .actual_access:  read_only
        .address_space:  global
        .offset:         48
        .size:           8
        .value_kind:     global_buffer
      - .actual_access:  read_only
        .address_space:  global
        .offset:         56
        .size:           8
        .value_kind:     global_buffer
      - .offset:         64
        .size:           4
        .value_kind:     by_value
      - .actual_access:  read_only
        .address_space:  global
        .offset:         72
        .size:           8
        .value_kind:     global_buffer
      - .offset:         80
        .size:           8
        .value_kind:     by_value
      - .address_space:  global
        .offset:         88
        .size:           8
        .value_kind:     global_buffer
      - .offset:         96
        .size:           4
        .value_kind:     by_value
      - .offset:         100
        .size:           1
        .value_kind:     by_value
    .group_segment_fixed_size: 0
    .kernarg_segment_align: 8
    .kernarg_segment_size: 104
    .language:       OpenCL C
    .language_version:
      - 2
      - 0
    .max_flat_workgroup_size: 64
    .name:           _ZN9rocsparseL22bsrxmvn_general_kernelILj64ELj8Efii18rocsparse_bfloat16S1_fEEv20rocsparse_direction_NS_24const_host_device_scalarIT1_EET3_PKS6_PKT2_SB_S8_PKT4_S6_PKT5_S5_PT6_21rocsparse_index_base_b
    .private_segment_fixed_size: 0
    .sgpr_count:     34
    .sgpr_spill_count: 0
    .symbol:         _ZN9rocsparseL22bsrxmvn_general_kernelILj64ELj8Efii18rocsparse_bfloat16S1_fEEv20rocsparse_direction_NS_24const_host_device_scalarIT1_EET3_PKS6_PKT2_SB_S8_PKT4_S6_PKT5_S5_PT6_21rocsparse_index_base_b.kd
    .uniform_work_group_size: 1
    .uses_dynamic_stack: false
    .vgpr_count:     21
    .vgpr_spill_count: 0
    .wavefront_size: 32
    .workgroup_processor_mode: 1
  - .args:
      - .offset:         0
        .size:           4
        .value_kind:     by_value
      - .offset:         8
        .size:           8
        .value_kind:     by_value
      - .offset:         16
        .size:           4
        .value_kind:     by_value
      - .actual_access:  read_only
        .address_space:  global
        .offset:         24
        .size:           8
        .value_kind:     global_buffer
      - .actual_access:  read_only
        .address_space:  global
        .offset:         32
        .size:           8
        .value_kind:     global_buffer
      - .actual_access:  read_only
        .address_space:  global
        .offset:         40
        .size:           8
        .value_kind:     global_buffer
      - .actual_access:  read_only
        .address_space:  global
        .offset:         48
        .size:           8
        .value_kind:     global_buffer
      - .actual_access:  read_only
        .address_space:  global
        .offset:         56
        .size:           8
        .value_kind:     global_buffer
      - .offset:         64
        .size:           4
        .value_kind:     by_value
      - .actual_access:  read_only
        .address_space:  global
        .offset:         72
        .size:           8
        .value_kind:     global_buffer
      - .offset:         80
        .size:           8
        .value_kind:     by_value
      - .address_space:  global
        .offset:         88
        .size:           8
        .value_kind:     global_buffer
      - .offset:         96
        .size:           4
        .value_kind:     by_value
      - .offset:         100
        .size:           1
        .value_kind:     by_value
    .group_segment_fixed_size: 0
    .kernarg_segment_align: 8
    .kernarg_segment_size: 104
    .language:       OpenCL C
    .language_version:
      - 2
      - 0
    .max_flat_workgroup_size: 256
    .name:           _ZN9rocsparseL22bsrxmvn_general_kernelILj256ELj16Efii18rocsparse_bfloat16S1_fEEv20rocsparse_direction_NS_24const_host_device_scalarIT1_EET3_PKS6_PKT2_SB_S8_PKT4_S6_PKT5_S5_PT6_21rocsparse_index_base_b
    .private_segment_fixed_size: 0
    .sgpr_count:     34
    .sgpr_spill_count: 0
    .symbol:         _ZN9rocsparseL22bsrxmvn_general_kernelILj256ELj16Efii18rocsparse_bfloat16S1_fEEv20rocsparse_direction_NS_24const_host_device_scalarIT1_EET3_PKS6_PKT2_SB_S8_PKT4_S6_PKT5_S5_PT6_21rocsparse_index_base_b.kd
    .uniform_work_group_size: 1
    .uses_dynamic_stack: false
    .vgpr_count:     22
    .vgpr_spill_count: 0
    .wavefront_size: 32
    .workgroup_processor_mode: 1
  - .args:
      - .offset:         0
        .size:           4
        .value_kind:     by_value
      - .offset:         8
        .size:           8
        .value_kind:     by_value
      - .offset:         16
        .size:           4
        .value_kind:     by_value
      - .actual_access:  read_only
        .address_space:  global
        .offset:         24
        .size:           8
        .value_kind:     global_buffer
      - .actual_access:  read_only
        .address_space:  global
        .offset:         32
        .size:           8
        .value_kind:     global_buffer
      - .actual_access:  read_only
        .address_space:  global
        .offset:         40
        .size:           8
        .value_kind:     global_buffer
      - .actual_access:  read_only
        .address_space:  global
        .offset:         48
        .size:           8
        .value_kind:     global_buffer
      - .actual_access:  read_only
        .address_space:  global
        .offset:         56
        .size:           8
        .value_kind:     global_buffer
      - .offset:         64
        .size:           4
        .value_kind:     by_value
      - .actual_access:  read_only
        .address_space:  global
        .offset:         72
        .size:           8
        .value_kind:     global_buffer
      - .offset:         80
        .size:           8
        .value_kind:     by_value
      - .address_space:  global
        .offset:         88
        .size:           8
        .value_kind:     global_buffer
      - .offset:         96
        .size:           4
        .value_kind:     by_value
      - .offset:         100
        .size:           1
        .value_kind:     by_value
    .group_segment_fixed_size: 0
    .kernarg_segment_align: 8
    .kernarg_segment_size: 104
    .language:       OpenCL C
    .language_version:
      - 2
      - 0
    .max_flat_workgroup_size: 1024
    .name:           _ZN9rocsparseL22bsrxmvn_general_kernelILj1024ELj32Efii18rocsparse_bfloat16S1_fEEv20rocsparse_direction_NS_24const_host_device_scalarIT1_EET3_PKS6_PKT2_SB_S8_PKT4_S6_PKT5_S5_PT6_21rocsparse_index_base_b
    .private_segment_fixed_size: 0
    .sgpr_count:     34
    .sgpr_spill_count: 0
    .symbol:         _ZN9rocsparseL22bsrxmvn_general_kernelILj1024ELj32Efii18rocsparse_bfloat16S1_fEEv20rocsparse_direction_NS_24const_host_device_scalarIT1_EET3_PKS6_PKT2_SB_S8_PKT4_S6_PKT5_S5_PT6_21rocsparse_index_base_b.kd
    .uniform_work_group_size: 1
    .uses_dynamic_stack: false
    .vgpr_count:     23
    .vgpr_spill_count: 0
    .wavefront_size: 32
    .workgroup_processor_mode: 1
  - .args:
      - .offset:         0
        .size:           4
        .value_kind:     by_value
      - .offset:         8
        .size:           8
        .value_kind:     by_value
      - .offset:         16
        .size:           4
        .value_kind:     by_value
      - .actual_access:  read_only
        .address_space:  global
        .offset:         24
        .size:           8
        .value_kind:     global_buffer
      - .actual_access:  read_only
        .address_space:  global
        .offset:         32
        .size:           8
        .value_kind:     global_buffer
      - .actual_access:  read_only
        .address_space:  global
        .offset:         40
        .size:           8
        .value_kind:     global_buffer
      - .actual_access:  read_only
        .address_space:  global
        .offset:         48
        .size:           8
        .value_kind:     global_buffer
      - .actual_access:  read_only
        .address_space:  global
        .offset:         56
        .size:           8
        .value_kind:     global_buffer
      - .offset:         64
        .size:           4
        .value_kind:     by_value
      - .actual_access:  read_only
        .address_space:  global
        .offset:         72
        .size:           8
        .value_kind:     global_buffer
      - .offset:         80
        .size:           8
        .value_kind:     by_value
      - .address_space:  global
        .offset:         88
        .size:           8
        .value_kind:     global_buffer
      - .offset:         96
        .size:           4
        .value_kind:     by_value
      - .offset:         100
        .size:           1
        .value_kind:     by_value
    .group_segment_fixed_size: 0
    .kernarg_segment_align: 8
    .kernarg_segment_size: 104
    .language:       OpenCL C
    .language_version:
      - 2
      - 0
    .max_flat_workgroup_size: 64
    .name:           _ZN9rocsparseL22bsrxmvn_general_kernelILj64ELj8Efli18rocsparse_bfloat16S1_fEEv20rocsparse_direction_NS_24const_host_device_scalarIT1_EET3_PKS6_PKT2_SB_S8_PKT4_S6_PKT5_S5_PT6_21rocsparse_index_base_b
    .private_segment_fixed_size: 0
    .sgpr_count:     38
    .sgpr_spill_count: 0
    .symbol:         _ZN9rocsparseL22bsrxmvn_general_kernelILj64ELj8Efli18rocsparse_bfloat16S1_fEEv20rocsparse_direction_NS_24const_host_device_scalarIT1_EET3_PKS6_PKT2_SB_S8_PKT4_S6_PKT5_S5_PT6_21rocsparse_index_base_b.kd
    .uniform_work_group_size: 1
    .uses_dynamic_stack: false
    .vgpr_count:     21
    .vgpr_spill_count: 0
    .wavefront_size: 32
    .workgroup_processor_mode: 1
  - .args:
      - .offset:         0
        .size:           4
        .value_kind:     by_value
      - .offset:         8
        .size:           8
        .value_kind:     by_value
      - .offset:         16
        .size:           4
        .value_kind:     by_value
      - .actual_access:  read_only
        .address_space:  global
        .offset:         24
        .size:           8
        .value_kind:     global_buffer
      - .actual_access:  read_only
        .address_space:  global
        .offset:         32
        .size:           8
        .value_kind:     global_buffer
      - .actual_access:  read_only
        .address_space:  global
        .offset:         40
        .size:           8
        .value_kind:     global_buffer
      - .actual_access:  read_only
        .address_space:  global
        .offset:         48
        .size:           8
        .value_kind:     global_buffer
      - .actual_access:  read_only
        .address_space:  global
        .offset:         56
        .size:           8
        .value_kind:     global_buffer
      - .offset:         64
        .size:           4
        .value_kind:     by_value
      - .actual_access:  read_only
        .address_space:  global
        .offset:         72
        .size:           8
        .value_kind:     global_buffer
      - .offset:         80
        .size:           8
        .value_kind:     by_value
      - .address_space:  global
        .offset:         88
        .size:           8
        .value_kind:     global_buffer
      - .offset:         96
        .size:           4
        .value_kind:     by_value
      - .offset:         100
        .size:           1
        .value_kind:     by_value
    .group_segment_fixed_size: 0
    .kernarg_segment_align: 8
    .kernarg_segment_size: 104
    .language:       OpenCL C
    .language_version:
      - 2
      - 0
    .max_flat_workgroup_size: 256
    .name:           _ZN9rocsparseL22bsrxmvn_general_kernelILj256ELj16Efli18rocsparse_bfloat16S1_fEEv20rocsparse_direction_NS_24const_host_device_scalarIT1_EET3_PKS6_PKT2_SB_S8_PKT4_S6_PKT5_S5_PT6_21rocsparse_index_base_b
    .private_segment_fixed_size: 0
    .sgpr_count:     38
    .sgpr_spill_count: 0
    .symbol:         _ZN9rocsparseL22bsrxmvn_general_kernelILj256ELj16Efli18rocsparse_bfloat16S1_fEEv20rocsparse_direction_NS_24const_host_device_scalarIT1_EET3_PKS6_PKT2_SB_S8_PKT4_S6_PKT5_S5_PT6_21rocsparse_index_base_b.kd
    .uniform_work_group_size: 1
    .uses_dynamic_stack: false
    .vgpr_count:     22
    .vgpr_spill_count: 0
    .wavefront_size: 32
    .workgroup_processor_mode: 1
  - .args:
      - .offset:         0
        .size:           4
        .value_kind:     by_value
      - .offset:         8
        .size:           8
        .value_kind:     by_value
      - .offset:         16
        .size:           4
        .value_kind:     by_value
      - .actual_access:  read_only
        .address_space:  global
        .offset:         24
        .size:           8
        .value_kind:     global_buffer
      - .actual_access:  read_only
        .address_space:  global
        .offset:         32
        .size:           8
        .value_kind:     global_buffer
      - .actual_access:  read_only
        .address_space:  global
        .offset:         40
        .size:           8
        .value_kind:     global_buffer
      - .actual_access:  read_only
        .address_space:  global
        .offset:         48
        .size:           8
        .value_kind:     global_buffer
      - .actual_access:  read_only
        .address_space:  global
        .offset:         56
        .size:           8
        .value_kind:     global_buffer
      - .offset:         64
        .size:           4
        .value_kind:     by_value
      - .actual_access:  read_only
        .address_space:  global
        .offset:         72
        .size:           8
        .value_kind:     global_buffer
      - .offset:         80
        .size:           8
        .value_kind:     by_value
      - .address_space:  global
        .offset:         88
        .size:           8
        .value_kind:     global_buffer
      - .offset:         96
        .size:           4
        .value_kind:     by_value
      - .offset:         100
        .size:           1
        .value_kind:     by_value
    .group_segment_fixed_size: 0
    .kernarg_segment_align: 8
    .kernarg_segment_size: 104
    .language:       OpenCL C
    .language_version:
      - 2
      - 0
    .max_flat_workgroup_size: 1024
    .name:           _ZN9rocsparseL22bsrxmvn_general_kernelILj1024ELj32Efli18rocsparse_bfloat16S1_fEEv20rocsparse_direction_NS_24const_host_device_scalarIT1_EET3_PKS6_PKT2_SB_S8_PKT4_S6_PKT5_S5_PT6_21rocsparse_index_base_b
    .private_segment_fixed_size: 0
    .sgpr_count:     38
    .sgpr_spill_count: 0
    .symbol:         _ZN9rocsparseL22bsrxmvn_general_kernelILj1024ELj32Efli18rocsparse_bfloat16S1_fEEv20rocsparse_direction_NS_24const_host_device_scalarIT1_EET3_PKS6_PKT2_SB_S8_PKT4_S6_PKT5_S5_PT6_21rocsparse_index_base_b.kd
    .uniform_work_group_size: 1
    .uses_dynamic_stack: false
    .vgpr_count:     23
    .vgpr_spill_count: 0
    .wavefront_size: 32
    .workgroup_processor_mode: 1
  - .args:
      - .offset:         0
        .size:           4
        .value_kind:     by_value
      - .offset:         8
        .size:           8
        .value_kind:     by_value
      - .offset:         16
        .size:           8
        .value_kind:     by_value
      - .actual_access:  read_only
        .address_space:  global
        .offset:         24
        .size:           8
        .value_kind:     global_buffer
      - .actual_access:  read_only
        .address_space:  global
        .offset:         32
        .size:           8
        .value_kind:     global_buffer
      - .actual_access:  read_only
        .address_space:  global
        .offset:         40
        .size:           8
        .value_kind:     global_buffer
      - .actual_access:  read_only
        .address_space:  global
        .offset:         48
        .size:           8
        .value_kind:     global_buffer
      - .actual_access:  read_only
        .address_space:  global
        .offset:         56
        .size:           8
        .value_kind:     global_buffer
      - .offset:         64
        .size:           8
        .value_kind:     by_value
      - .actual_access:  read_only
        .address_space:  global
        .offset:         72
        .size:           8
        .value_kind:     global_buffer
      - .offset:         80
        .size:           8
        .value_kind:     by_value
      - .address_space:  global
        .offset:         88
        .size:           8
        .value_kind:     global_buffer
      - .offset:         96
        .size:           4
        .value_kind:     by_value
      - .offset:         100
        .size:           1
        .value_kind:     by_value
    .group_segment_fixed_size: 0
    .kernarg_segment_align: 8
    .kernarg_segment_size: 104
    .language:       OpenCL C
    .language_version:
      - 2
      - 0
    .max_flat_workgroup_size: 64
    .name:           _ZN9rocsparseL22bsrxmvn_general_kernelILj64ELj8Efll18rocsparse_bfloat16S1_fEEv20rocsparse_direction_NS_24const_host_device_scalarIT1_EET3_PKS6_PKT2_SB_S8_PKT4_S6_PKT5_S5_PT6_21rocsparse_index_base_b
    .private_segment_fixed_size: 0
    .sgpr_count:     38
    .sgpr_spill_count: 0
    .symbol:         _ZN9rocsparseL22bsrxmvn_general_kernelILj64ELj8Efll18rocsparse_bfloat16S1_fEEv20rocsparse_direction_NS_24const_host_device_scalarIT1_EET3_PKS6_PKT2_SB_S8_PKT4_S6_PKT5_S5_PT6_21rocsparse_index_base_b.kd
    .uniform_work_group_size: 1
    .uses_dynamic_stack: false
    .vgpr_count:     22
    .vgpr_spill_count: 0
    .wavefront_size: 32
    .workgroup_processor_mode: 1
  - .args:
      - .offset:         0
        .size:           4
        .value_kind:     by_value
      - .offset:         8
        .size:           8
        .value_kind:     by_value
      - .offset:         16
        .size:           8
        .value_kind:     by_value
      - .actual_access:  read_only
        .address_space:  global
        .offset:         24
        .size:           8
        .value_kind:     global_buffer
      - .actual_access:  read_only
        .address_space:  global
        .offset:         32
        .size:           8
        .value_kind:     global_buffer
      - .actual_access:  read_only
        .address_space:  global
        .offset:         40
        .size:           8
        .value_kind:     global_buffer
      - .actual_access:  read_only
        .address_space:  global
        .offset:         48
        .size:           8
        .value_kind:     global_buffer
      - .actual_access:  read_only
        .address_space:  global
        .offset:         56
        .size:           8
        .value_kind:     global_buffer
      - .offset:         64
        .size:           8
        .value_kind:     by_value
      - .actual_access:  read_only
        .address_space:  global
        .offset:         72
        .size:           8
        .value_kind:     global_buffer
      - .offset:         80
        .size:           8
        .value_kind:     by_value
      - .address_space:  global
        .offset:         88
        .size:           8
        .value_kind:     global_buffer
      - .offset:         96
        .size:           4
        .value_kind:     by_value
      - .offset:         100
        .size:           1
        .value_kind:     by_value
    .group_segment_fixed_size: 0
    .kernarg_segment_align: 8
    .kernarg_segment_size: 104
    .language:       OpenCL C
    .language_version:
      - 2
      - 0
    .max_flat_workgroup_size: 256
    .name:           _ZN9rocsparseL22bsrxmvn_general_kernelILj256ELj16Efll18rocsparse_bfloat16S1_fEEv20rocsparse_direction_NS_24const_host_device_scalarIT1_EET3_PKS6_PKT2_SB_S8_PKT4_S6_PKT5_S5_PT6_21rocsparse_index_base_b
    .private_segment_fixed_size: 0
    .sgpr_count:     38
    .sgpr_spill_count: 0
    .symbol:         _ZN9rocsparseL22bsrxmvn_general_kernelILj256ELj16Efll18rocsparse_bfloat16S1_fEEv20rocsparse_direction_NS_24const_host_device_scalarIT1_EET3_PKS6_PKT2_SB_S8_PKT4_S6_PKT5_S5_PT6_21rocsparse_index_base_b.kd
    .uniform_work_group_size: 1
    .uses_dynamic_stack: false
    .vgpr_count:     23
    .vgpr_spill_count: 0
    .wavefront_size: 32
    .workgroup_processor_mode: 1
  - .args:
      - .offset:         0
        .size:           4
        .value_kind:     by_value
      - .offset:         8
        .size:           8
        .value_kind:     by_value
      - .offset:         16
        .size:           8
        .value_kind:     by_value
      - .actual_access:  read_only
        .address_space:  global
        .offset:         24
        .size:           8
        .value_kind:     global_buffer
      - .actual_access:  read_only
        .address_space:  global
        .offset:         32
        .size:           8
        .value_kind:     global_buffer
      - .actual_access:  read_only
        .address_space:  global
        .offset:         40
        .size:           8
        .value_kind:     global_buffer
      - .actual_access:  read_only
        .address_space:  global
        .offset:         48
        .size:           8
        .value_kind:     global_buffer
      - .actual_access:  read_only
        .address_space:  global
        .offset:         56
        .size:           8
        .value_kind:     global_buffer
      - .offset:         64
        .size:           8
        .value_kind:     by_value
      - .actual_access:  read_only
        .address_space:  global
        .offset:         72
        .size:           8
        .value_kind:     global_buffer
      - .offset:         80
        .size:           8
        .value_kind:     by_value
      - .address_space:  global
        .offset:         88
        .size:           8
        .value_kind:     global_buffer
      - .offset:         96
        .size:           4
        .value_kind:     by_value
      - .offset:         100
        .size:           1
        .value_kind:     by_value
    .group_segment_fixed_size: 0
    .kernarg_segment_align: 8
    .kernarg_segment_size: 104
    .language:       OpenCL C
    .language_version:
      - 2
      - 0
    .max_flat_workgroup_size: 1024
    .name:           _ZN9rocsparseL22bsrxmvn_general_kernelILj1024ELj32Efll18rocsparse_bfloat16S1_fEEv20rocsparse_direction_NS_24const_host_device_scalarIT1_EET3_PKS6_PKT2_SB_S8_PKT4_S6_PKT5_S5_PT6_21rocsparse_index_base_b
    .private_segment_fixed_size: 0
    .sgpr_count:     38
    .sgpr_spill_count: 0
    .symbol:         _ZN9rocsparseL22bsrxmvn_general_kernelILj1024ELj32Efll18rocsparse_bfloat16S1_fEEv20rocsparse_direction_NS_24const_host_device_scalarIT1_EET3_PKS6_PKT2_SB_S8_PKT4_S6_PKT5_S5_PT6_21rocsparse_index_base_b.kd
    .uniform_work_group_size: 1
    .uses_dynamic_stack: false
    .vgpr_count:     24
    .vgpr_spill_count: 0
    .wavefront_size: 32
    .workgroup_processor_mode: 1
  - .args:
      - .offset:         0
        .size:           4
        .value_kind:     by_value
      - .offset:         8
        .size:           8
        .value_kind:     by_value
      - .offset:         16
        .size:           4
        .value_kind:     by_value
      - .actual_access:  read_only
        .address_space:  global
        .offset:         24
        .size:           8
        .value_kind:     global_buffer
      - .actual_access:  read_only
        .address_space:  global
        .offset:         32
        .size:           8
        .value_kind:     global_buffer
      - .actual_access:  read_only
        .address_space:  global
        .offset:         40
        .size:           8
        .value_kind:     global_buffer
      - .actual_access:  read_only
        .address_space:  global
        .offset:         48
        .size:           8
        .value_kind:     global_buffer
      - .actual_access:  read_only
        .address_space:  global
        .offset:         56
        .size:           8
        .value_kind:     global_buffer
      - .offset:         64
        .size:           4
        .value_kind:     by_value
      - .actual_access:  read_only
        .address_space:  global
        .offset:         72
        .size:           8
        .value_kind:     global_buffer
      - .offset:         80
        .size:           8
        .value_kind:     by_value
      - .address_space:  global
        .offset:         88
        .size:           8
        .value_kind:     global_buffer
      - .offset:         96
        .size:           4
        .value_kind:     by_value
      - .offset:         100
        .size:           1
        .value_kind:     by_value
    .group_segment_fixed_size: 0
    .kernarg_segment_align: 8
    .kernarg_segment_size: 104
    .language:       OpenCL C
    .language_version:
      - 2
      - 0
    .max_flat_workgroup_size: 64
    .name:           _ZN9rocsparseL22bsrxmvn_general_kernelILj64ELj8E21rocsparse_complex_numIfEiifS2_S2_EEv20rocsparse_direction_NS_24const_host_device_scalarIT1_EET3_PKS7_PKT2_SC_S9_PKT4_S7_PKT5_S6_PT6_21rocsparse_index_base_b
    .private_segment_fixed_size: 0
    .sgpr_count:     32
    .sgpr_spill_count: 0
    .symbol:         _ZN9rocsparseL22bsrxmvn_general_kernelILj64ELj8E21rocsparse_complex_numIfEiifS2_S2_EEv20rocsparse_direction_NS_24const_host_device_scalarIT1_EET3_PKS7_PKT2_SC_S9_PKT4_S7_PKT5_S6_PT6_21rocsparse_index_base_b.kd
    .uniform_work_group_size: 1
    .uses_dynamic_stack: false
    .vgpr_count:     27
    .vgpr_spill_count: 0
    .wavefront_size: 32
    .workgroup_processor_mode: 1
  - .args:
      - .offset:         0
        .size:           4
        .value_kind:     by_value
      - .offset:         8
        .size:           8
        .value_kind:     by_value
      - .offset:         16
        .size:           4
        .value_kind:     by_value
      - .actual_access:  read_only
        .address_space:  global
        .offset:         24
        .size:           8
        .value_kind:     global_buffer
      - .actual_access:  read_only
        .address_space:  global
        .offset:         32
        .size:           8
        .value_kind:     global_buffer
      - .actual_access:  read_only
        .address_space:  global
        .offset:         40
        .size:           8
        .value_kind:     global_buffer
      - .actual_access:  read_only
        .address_space:  global
        .offset:         48
        .size:           8
        .value_kind:     global_buffer
      - .actual_access:  read_only
        .address_space:  global
        .offset:         56
        .size:           8
        .value_kind:     global_buffer
      - .offset:         64
        .size:           4
        .value_kind:     by_value
      - .actual_access:  read_only
        .address_space:  global
        .offset:         72
        .size:           8
        .value_kind:     global_buffer
      - .offset:         80
        .size:           8
        .value_kind:     by_value
      - .address_space:  global
        .offset:         88
        .size:           8
        .value_kind:     global_buffer
      - .offset:         96
        .size:           4
        .value_kind:     by_value
      - .offset:         100
        .size:           1
        .value_kind:     by_value
    .group_segment_fixed_size: 0
    .kernarg_segment_align: 8
    .kernarg_segment_size: 104
    .language:       OpenCL C
    .language_version:
      - 2
      - 0
    .max_flat_workgroup_size: 256
    .name:           _ZN9rocsparseL22bsrxmvn_general_kernelILj256ELj16E21rocsparse_complex_numIfEiifS2_S2_EEv20rocsparse_direction_NS_24const_host_device_scalarIT1_EET3_PKS7_PKT2_SC_S9_PKT4_S7_PKT5_S6_PT6_21rocsparse_index_base_b
    .private_segment_fixed_size: 0
    .sgpr_count:     32
    .sgpr_spill_count: 0
    .symbol:         _ZN9rocsparseL22bsrxmvn_general_kernelILj256ELj16E21rocsparse_complex_numIfEiifS2_S2_EEv20rocsparse_direction_NS_24const_host_device_scalarIT1_EET3_PKS7_PKT2_SC_S9_PKT4_S7_PKT5_S6_PT6_21rocsparse_index_base_b.kd
    .uniform_work_group_size: 1
    .uses_dynamic_stack: false
    .vgpr_count:     28
    .vgpr_spill_count: 0
    .wavefront_size: 32
    .workgroup_processor_mode: 1
  - .args:
      - .offset:         0
        .size:           4
        .value_kind:     by_value
      - .offset:         8
        .size:           8
        .value_kind:     by_value
      - .offset:         16
        .size:           4
        .value_kind:     by_value
      - .actual_access:  read_only
        .address_space:  global
        .offset:         24
        .size:           8
        .value_kind:     global_buffer
      - .actual_access:  read_only
        .address_space:  global
        .offset:         32
        .size:           8
        .value_kind:     global_buffer
      - .actual_access:  read_only
        .address_space:  global
        .offset:         40
        .size:           8
        .value_kind:     global_buffer
      - .actual_access:  read_only
        .address_space:  global
        .offset:         48
        .size:           8
        .value_kind:     global_buffer
      - .actual_access:  read_only
        .address_space:  global
        .offset:         56
        .size:           8
        .value_kind:     global_buffer
      - .offset:         64
        .size:           4
        .value_kind:     by_value
      - .actual_access:  read_only
        .address_space:  global
        .offset:         72
        .size:           8
        .value_kind:     global_buffer
      - .offset:         80
        .size:           8
        .value_kind:     by_value
      - .address_space:  global
        .offset:         88
        .size:           8
        .value_kind:     global_buffer
      - .offset:         96
        .size:           4
        .value_kind:     by_value
      - .offset:         100
        .size:           1
        .value_kind:     by_value
    .group_segment_fixed_size: 0
    .kernarg_segment_align: 8
    .kernarg_segment_size: 104
    .language:       OpenCL C
    .language_version:
      - 2
      - 0
    .max_flat_workgroup_size: 1024
    .name:           _ZN9rocsparseL22bsrxmvn_general_kernelILj1024ELj32E21rocsparse_complex_numIfEiifS2_S2_EEv20rocsparse_direction_NS_24const_host_device_scalarIT1_EET3_PKS7_PKT2_SC_S9_PKT4_S7_PKT5_S6_PT6_21rocsparse_index_base_b
    .private_segment_fixed_size: 0
    .sgpr_count:     32
    .sgpr_spill_count: 0
    .symbol:         _ZN9rocsparseL22bsrxmvn_general_kernelILj1024ELj32E21rocsparse_complex_numIfEiifS2_S2_EEv20rocsparse_direction_NS_24const_host_device_scalarIT1_EET3_PKS7_PKT2_SC_S9_PKT4_S7_PKT5_S6_PT6_21rocsparse_index_base_b.kd
    .uniform_work_group_size: 1
    .uses_dynamic_stack: false
    .vgpr_count:     29
    .vgpr_spill_count: 0
    .wavefront_size: 32
    .workgroup_processor_mode: 1
  - .args:
      - .offset:         0
        .size:           4
        .value_kind:     by_value
      - .offset:         8
        .size:           8
        .value_kind:     by_value
      - .offset:         16
        .size:           4
        .value_kind:     by_value
      - .actual_access:  read_only
        .address_space:  global
        .offset:         24
        .size:           8
        .value_kind:     global_buffer
      - .actual_access:  read_only
        .address_space:  global
        .offset:         32
        .size:           8
        .value_kind:     global_buffer
      - .actual_access:  read_only
        .address_space:  global
        .offset:         40
        .size:           8
        .value_kind:     global_buffer
      - .actual_access:  read_only
        .address_space:  global
        .offset:         48
        .size:           8
        .value_kind:     global_buffer
      - .actual_access:  read_only
        .address_space:  global
        .offset:         56
        .size:           8
        .value_kind:     global_buffer
      - .offset:         64
        .size:           4
        .value_kind:     by_value
      - .actual_access:  read_only
        .address_space:  global
        .offset:         72
        .size:           8
        .value_kind:     global_buffer
      - .offset:         80
        .size:           8
        .value_kind:     by_value
      - .address_space:  global
        .offset:         88
        .size:           8
        .value_kind:     global_buffer
      - .offset:         96
        .size:           4
        .value_kind:     by_value
      - .offset:         100
        .size:           1
        .value_kind:     by_value
    .group_segment_fixed_size: 0
    .kernarg_segment_align: 8
    .kernarg_segment_size: 104
    .language:       OpenCL C
    .language_version:
      - 2
      - 0
    .max_flat_workgroup_size: 64
    .name:           _ZN9rocsparseL22bsrxmvn_general_kernelILj64ELj8E21rocsparse_complex_numIfElifS2_S2_EEv20rocsparse_direction_NS_24const_host_device_scalarIT1_EET3_PKS7_PKT2_SC_S9_PKT4_S7_PKT5_S6_PT6_21rocsparse_index_base_b
    .private_segment_fixed_size: 0
    .sgpr_count:     34
    .sgpr_spill_count: 0
    .symbol:         _ZN9rocsparseL22bsrxmvn_general_kernelILj64ELj8E21rocsparse_complex_numIfElifS2_S2_EEv20rocsparse_direction_NS_24const_host_device_scalarIT1_EET3_PKS7_PKT2_SC_S9_PKT4_S7_PKT5_S6_PT6_21rocsparse_index_base_b.kd
    .uniform_work_group_size: 1
    .uses_dynamic_stack: false
    .vgpr_count:     27
    .vgpr_spill_count: 0
    .wavefront_size: 32
    .workgroup_processor_mode: 1
  - .args:
      - .offset:         0
        .size:           4
        .value_kind:     by_value
      - .offset:         8
        .size:           8
        .value_kind:     by_value
      - .offset:         16
        .size:           4
        .value_kind:     by_value
      - .actual_access:  read_only
        .address_space:  global
        .offset:         24
        .size:           8
        .value_kind:     global_buffer
      - .actual_access:  read_only
        .address_space:  global
        .offset:         32
        .size:           8
        .value_kind:     global_buffer
      - .actual_access:  read_only
        .address_space:  global
        .offset:         40
        .size:           8
        .value_kind:     global_buffer
      - .actual_access:  read_only
        .address_space:  global
        .offset:         48
        .size:           8
        .value_kind:     global_buffer
      - .actual_access:  read_only
        .address_space:  global
        .offset:         56
        .size:           8
        .value_kind:     global_buffer
      - .offset:         64
        .size:           4
        .value_kind:     by_value
      - .actual_access:  read_only
        .address_space:  global
        .offset:         72
        .size:           8
        .value_kind:     global_buffer
      - .offset:         80
        .size:           8
        .value_kind:     by_value
      - .address_space:  global
        .offset:         88
        .size:           8
        .value_kind:     global_buffer
      - .offset:         96
        .size:           4
        .value_kind:     by_value
      - .offset:         100
        .size:           1
        .value_kind:     by_value
    .group_segment_fixed_size: 0
    .kernarg_segment_align: 8
    .kernarg_segment_size: 104
    .language:       OpenCL C
    .language_version:
      - 2
      - 0
    .max_flat_workgroup_size: 256
    .name:           _ZN9rocsparseL22bsrxmvn_general_kernelILj256ELj16E21rocsparse_complex_numIfElifS2_S2_EEv20rocsparse_direction_NS_24const_host_device_scalarIT1_EET3_PKS7_PKT2_SC_S9_PKT4_S7_PKT5_S6_PT6_21rocsparse_index_base_b
    .private_segment_fixed_size: 0
    .sgpr_count:     34
    .sgpr_spill_count: 0
    .symbol:         _ZN9rocsparseL22bsrxmvn_general_kernelILj256ELj16E21rocsparse_complex_numIfElifS2_S2_EEv20rocsparse_direction_NS_24const_host_device_scalarIT1_EET3_PKS7_PKT2_SC_S9_PKT4_S7_PKT5_S6_PT6_21rocsparse_index_base_b.kd
    .uniform_work_group_size: 1
    .uses_dynamic_stack: false
    .vgpr_count:     28
    .vgpr_spill_count: 0
    .wavefront_size: 32
    .workgroup_processor_mode: 1
  - .args:
      - .offset:         0
        .size:           4
        .value_kind:     by_value
      - .offset:         8
        .size:           8
        .value_kind:     by_value
      - .offset:         16
        .size:           4
        .value_kind:     by_value
      - .actual_access:  read_only
        .address_space:  global
        .offset:         24
        .size:           8
        .value_kind:     global_buffer
      - .actual_access:  read_only
        .address_space:  global
        .offset:         32
        .size:           8
        .value_kind:     global_buffer
      - .actual_access:  read_only
        .address_space:  global
        .offset:         40
        .size:           8
        .value_kind:     global_buffer
      - .actual_access:  read_only
        .address_space:  global
        .offset:         48
        .size:           8
        .value_kind:     global_buffer
      - .actual_access:  read_only
        .address_space:  global
        .offset:         56
        .size:           8
        .value_kind:     global_buffer
      - .offset:         64
        .size:           4
        .value_kind:     by_value
      - .actual_access:  read_only
        .address_space:  global
        .offset:         72
        .size:           8
        .value_kind:     global_buffer
      - .offset:         80
        .size:           8
        .value_kind:     by_value
      - .address_space:  global
        .offset:         88
        .size:           8
        .value_kind:     global_buffer
      - .offset:         96
        .size:           4
        .value_kind:     by_value
      - .offset:         100
        .size:           1
        .value_kind:     by_value
    .group_segment_fixed_size: 0
    .kernarg_segment_align: 8
    .kernarg_segment_size: 104
    .language:       OpenCL C
    .language_version:
      - 2
      - 0
    .max_flat_workgroup_size: 1024
    .name:           _ZN9rocsparseL22bsrxmvn_general_kernelILj1024ELj32E21rocsparse_complex_numIfElifS2_S2_EEv20rocsparse_direction_NS_24const_host_device_scalarIT1_EET3_PKS7_PKT2_SC_S9_PKT4_S7_PKT5_S6_PT6_21rocsparse_index_base_b
    .private_segment_fixed_size: 0
    .sgpr_count:     34
    .sgpr_spill_count: 0
    .symbol:         _ZN9rocsparseL22bsrxmvn_general_kernelILj1024ELj32E21rocsparse_complex_numIfElifS2_S2_EEv20rocsparse_direction_NS_24const_host_device_scalarIT1_EET3_PKS7_PKT2_SC_S9_PKT4_S7_PKT5_S6_PT6_21rocsparse_index_base_b.kd
    .uniform_work_group_size: 1
    .uses_dynamic_stack: false
    .vgpr_count:     29
    .vgpr_spill_count: 0
    .wavefront_size: 32
    .workgroup_processor_mode: 1
  - .args:
      - .offset:         0
        .size:           4
        .value_kind:     by_value
      - .offset:         8
        .size:           8
        .value_kind:     by_value
      - .offset:         16
        .size:           8
        .value_kind:     by_value
      - .actual_access:  read_only
        .address_space:  global
        .offset:         24
        .size:           8
        .value_kind:     global_buffer
      - .actual_access:  read_only
        .address_space:  global
        .offset:         32
        .size:           8
        .value_kind:     global_buffer
      - .actual_access:  read_only
        .address_space:  global
        .offset:         40
        .size:           8
        .value_kind:     global_buffer
      - .actual_access:  read_only
        .address_space:  global
        .offset:         48
        .size:           8
        .value_kind:     global_buffer
      - .actual_access:  read_only
        .address_space:  global
        .offset:         56
        .size:           8
        .value_kind:     global_buffer
      - .offset:         64
        .size:           8
        .value_kind:     by_value
      - .actual_access:  read_only
        .address_space:  global
        .offset:         72
        .size:           8
        .value_kind:     global_buffer
      - .offset:         80
        .size:           8
        .value_kind:     by_value
      - .address_space:  global
        .offset:         88
        .size:           8
        .value_kind:     global_buffer
      - .offset:         96
        .size:           4
        .value_kind:     by_value
      - .offset:         100
        .size:           1
        .value_kind:     by_value
    .group_segment_fixed_size: 0
    .kernarg_segment_align: 8
    .kernarg_segment_size: 104
    .language:       OpenCL C
    .language_version:
      - 2
      - 0
    .max_flat_workgroup_size: 64
    .name:           _ZN9rocsparseL22bsrxmvn_general_kernelILj64ELj8E21rocsparse_complex_numIfEllfS2_S2_EEv20rocsparse_direction_NS_24const_host_device_scalarIT1_EET3_PKS7_PKT2_SC_S9_PKT4_S7_PKT5_S6_PT6_21rocsparse_index_base_b
    .private_segment_fixed_size: 0
    .sgpr_count:     33
    .sgpr_spill_count: 0
    .symbol:         _ZN9rocsparseL22bsrxmvn_general_kernelILj64ELj8E21rocsparse_complex_numIfEllfS2_S2_EEv20rocsparse_direction_NS_24const_host_device_scalarIT1_EET3_PKS7_PKT2_SC_S9_PKT4_S7_PKT5_S6_PT6_21rocsparse_index_base_b.kd
    .uniform_work_group_size: 1
    .uses_dynamic_stack: false
    .vgpr_count:     27
    .vgpr_spill_count: 0
    .wavefront_size: 32
    .workgroup_processor_mode: 1
  - .args:
      - .offset:         0
        .size:           4
        .value_kind:     by_value
      - .offset:         8
        .size:           8
        .value_kind:     by_value
      - .offset:         16
        .size:           8
        .value_kind:     by_value
      - .actual_access:  read_only
        .address_space:  global
        .offset:         24
        .size:           8
        .value_kind:     global_buffer
      - .actual_access:  read_only
        .address_space:  global
        .offset:         32
        .size:           8
        .value_kind:     global_buffer
      - .actual_access:  read_only
        .address_space:  global
        .offset:         40
        .size:           8
        .value_kind:     global_buffer
      - .actual_access:  read_only
        .address_space:  global
        .offset:         48
        .size:           8
        .value_kind:     global_buffer
      - .actual_access:  read_only
        .address_space:  global
        .offset:         56
        .size:           8
        .value_kind:     global_buffer
      - .offset:         64
        .size:           8
        .value_kind:     by_value
      - .actual_access:  read_only
        .address_space:  global
        .offset:         72
        .size:           8
        .value_kind:     global_buffer
      - .offset:         80
        .size:           8
        .value_kind:     by_value
      - .address_space:  global
        .offset:         88
        .size:           8
        .value_kind:     global_buffer
      - .offset:         96
        .size:           4
        .value_kind:     by_value
      - .offset:         100
        .size:           1
        .value_kind:     by_value
    .group_segment_fixed_size: 0
    .kernarg_segment_align: 8
    .kernarg_segment_size: 104
    .language:       OpenCL C
    .language_version:
      - 2
      - 0
    .max_flat_workgroup_size: 256
    .name:           _ZN9rocsparseL22bsrxmvn_general_kernelILj256ELj16E21rocsparse_complex_numIfEllfS2_S2_EEv20rocsparse_direction_NS_24const_host_device_scalarIT1_EET3_PKS7_PKT2_SC_S9_PKT4_S7_PKT5_S6_PT6_21rocsparse_index_base_b
    .private_segment_fixed_size: 0
    .sgpr_count:     36
    .sgpr_spill_count: 0
    .symbol:         _ZN9rocsparseL22bsrxmvn_general_kernelILj256ELj16E21rocsparse_complex_numIfEllfS2_S2_EEv20rocsparse_direction_NS_24const_host_device_scalarIT1_EET3_PKS7_PKT2_SC_S9_PKT4_S7_PKT5_S6_PT6_21rocsparse_index_base_b.kd
    .uniform_work_group_size: 1
    .uses_dynamic_stack: false
    .vgpr_count:     28
    .vgpr_spill_count: 0
    .wavefront_size: 32
    .workgroup_processor_mode: 1
  - .args:
      - .offset:         0
        .size:           4
        .value_kind:     by_value
      - .offset:         8
        .size:           8
        .value_kind:     by_value
      - .offset:         16
        .size:           8
        .value_kind:     by_value
      - .actual_access:  read_only
        .address_space:  global
        .offset:         24
        .size:           8
        .value_kind:     global_buffer
      - .actual_access:  read_only
        .address_space:  global
        .offset:         32
        .size:           8
        .value_kind:     global_buffer
      - .actual_access:  read_only
        .address_space:  global
        .offset:         40
        .size:           8
        .value_kind:     global_buffer
      - .actual_access:  read_only
        .address_space:  global
        .offset:         48
        .size:           8
        .value_kind:     global_buffer
      - .actual_access:  read_only
        .address_space:  global
        .offset:         56
        .size:           8
        .value_kind:     global_buffer
      - .offset:         64
        .size:           8
        .value_kind:     by_value
      - .actual_access:  read_only
        .address_space:  global
        .offset:         72
        .size:           8
        .value_kind:     global_buffer
      - .offset:         80
        .size:           8
        .value_kind:     by_value
      - .address_space:  global
        .offset:         88
        .size:           8
        .value_kind:     global_buffer
      - .offset:         96
        .size:           4
        .value_kind:     by_value
      - .offset:         100
        .size:           1
        .value_kind:     by_value
    .group_segment_fixed_size: 0
    .kernarg_segment_align: 8
    .kernarg_segment_size: 104
    .language:       OpenCL C
    .language_version:
      - 2
      - 0
    .max_flat_workgroup_size: 1024
    .name:           _ZN9rocsparseL22bsrxmvn_general_kernelILj1024ELj32E21rocsparse_complex_numIfEllfS2_S2_EEv20rocsparse_direction_NS_24const_host_device_scalarIT1_EET3_PKS7_PKT2_SC_S9_PKT4_S7_PKT5_S6_PT6_21rocsparse_index_base_b
    .private_segment_fixed_size: 0
    .sgpr_count:     36
    .sgpr_spill_count: 0
    .symbol:         _ZN9rocsparseL22bsrxmvn_general_kernelILj1024ELj32E21rocsparse_complex_numIfEllfS2_S2_EEv20rocsparse_direction_NS_24const_host_device_scalarIT1_EET3_PKS7_PKT2_SC_S9_PKT4_S7_PKT5_S6_PT6_21rocsparse_index_base_b.kd
    .uniform_work_group_size: 1
    .uses_dynamic_stack: false
    .vgpr_count:     29
    .vgpr_spill_count: 0
    .wavefront_size: 32
    .workgroup_processor_mode: 1
  - .args:
      - .offset:         0
        .size:           4
        .value_kind:     by_value
      - .offset:         8
        .size:           8
        .value_kind:     by_value
      - .offset:         16
        .size:           4
        .value_kind:     by_value
      - .actual_access:  read_only
        .address_space:  global
        .offset:         24
        .size:           8
        .value_kind:     global_buffer
      - .actual_access:  read_only
        .address_space:  global
        .offset:         32
        .size:           8
        .value_kind:     global_buffer
      - .actual_access:  read_only
        .address_space:  global
        .offset:         40
        .size:           8
        .value_kind:     global_buffer
      - .actual_access:  read_only
        .address_space:  global
        .offset:         48
        .size:           8
        .value_kind:     global_buffer
      - .actual_access:  read_only
        .address_space:  global
        .offset:         56
        .size:           8
        .value_kind:     global_buffer
      - .offset:         64
        .size:           4
        .value_kind:     by_value
      - .actual_access:  read_only
        .address_space:  global
        .offset:         72
        .size:           8
        .value_kind:     global_buffer
      - .offset:         80
        .size:           8
        .value_kind:     by_value
      - .address_space:  global
        .offset:         88
        .size:           8
        .value_kind:     global_buffer
      - .offset:         96
        .size:           4
        .value_kind:     by_value
      - .offset:         100
        .size:           1
        .value_kind:     by_value
    .group_segment_fixed_size: 0
    .kernarg_segment_align: 8
    .kernarg_segment_size: 104
    .language:       OpenCL C
    .language_version:
      - 2
      - 0
    .max_flat_workgroup_size: 64
    .name:           _ZN9rocsparseL22bsrxmvn_general_kernelILj64ELj8EdiifddEEv20rocsparse_direction_NS_24const_host_device_scalarIT1_EET3_PKS5_PKT2_SA_S7_PKT4_S5_PKT5_S4_PT6_21rocsparse_index_base_b
    .private_segment_fixed_size: 0
    .sgpr_count:     32
    .sgpr_spill_count: 0
    .symbol:         _ZN9rocsparseL22bsrxmvn_general_kernelILj64ELj8EdiifddEEv20rocsparse_direction_NS_24const_host_device_scalarIT1_EET3_PKS5_PKT2_SA_S7_PKT4_S5_PKT5_S4_PT6_21rocsparse_index_base_b.kd
    .uniform_work_group_size: 1
    .uses_dynamic_stack: false
    .vgpr_count:     26
    .vgpr_spill_count: 0
    .wavefront_size: 32
    .workgroup_processor_mode: 1
  - .args:
      - .offset:         0
        .size:           4
        .value_kind:     by_value
      - .offset:         8
        .size:           8
        .value_kind:     by_value
      - .offset:         16
        .size:           4
        .value_kind:     by_value
      - .actual_access:  read_only
        .address_space:  global
        .offset:         24
        .size:           8
        .value_kind:     global_buffer
      - .actual_access:  read_only
        .address_space:  global
        .offset:         32
        .size:           8
        .value_kind:     global_buffer
      - .actual_access:  read_only
        .address_space:  global
        .offset:         40
        .size:           8
        .value_kind:     global_buffer
      - .actual_access:  read_only
        .address_space:  global
        .offset:         48
        .size:           8
        .value_kind:     global_buffer
      - .actual_access:  read_only
        .address_space:  global
        .offset:         56
        .size:           8
        .value_kind:     global_buffer
      - .offset:         64
        .size:           4
        .value_kind:     by_value
      - .actual_access:  read_only
        .address_space:  global
        .offset:         72
        .size:           8
        .value_kind:     global_buffer
      - .offset:         80
        .size:           8
        .value_kind:     by_value
      - .address_space:  global
        .offset:         88
        .size:           8
        .value_kind:     global_buffer
      - .offset:         96
        .size:           4
        .value_kind:     by_value
      - .offset:         100
        .size:           1
        .value_kind:     by_value
    .group_segment_fixed_size: 0
    .kernarg_segment_align: 8
    .kernarg_segment_size: 104
    .language:       OpenCL C
    .language_version:
      - 2
      - 0
    .max_flat_workgroup_size: 256
    .name:           _ZN9rocsparseL22bsrxmvn_general_kernelILj256ELj16EdiifddEEv20rocsparse_direction_NS_24const_host_device_scalarIT1_EET3_PKS5_PKT2_SA_S7_PKT4_S5_PKT5_S4_PT6_21rocsparse_index_base_b
    .private_segment_fixed_size: 0
    .sgpr_count:     32
    .sgpr_spill_count: 0
    .symbol:         _ZN9rocsparseL22bsrxmvn_general_kernelILj256ELj16EdiifddEEv20rocsparse_direction_NS_24const_host_device_scalarIT1_EET3_PKS5_PKT2_SA_S7_PKT4_S5_PKT5_S4_PT6_21rocsparse_index_base_b.kd
    .uniform_work_group_size: 1
    .uses_dynamic_stack: false
    .vgpr_count:     27
    .vgpr_spill_count: 0
    .wavefront_size: 32
    .workgroup_processor_mode: 1
  - .args:
      - .offset:         0
        .size:           4
        .value_kind:     by_value
      - .offset:         8
        .size:           8
        .value_kind:     by_value
      - .offset:         16
        .size:           4
        .value_kind:     by_value
      - .actual_access:  read_only
        .address_space:  global
        .offset:         24
        .size:           8
        .value_kind:     global_buffer
      - .actual_access:  read_only
        .address_space:  global
        .offset:         32
        .size:           8
        .value_kind:     global_buffer
      - .actual_access:  read_only
        .address_space:  global
        .offset:         40
        .size:           8
        .value_kind:     global_buffer
      - .actual_access:  read_only
        .address_space:  global
        .offset:         48
        .size:           8
        .value_kind:     global_buffer
      - .actual_access:  read_only
        .address_space:  global
        .offset:         56
        .size:           8
        .value_kind:     global_buffer
      - .offset:         64
        .size:           4
        .value_kind:     by_value
      - .actual_access:  read_only
        .address_space:  global
        .offset:         72
        .size:           8
        .value_kind:     global_buffer
      - .offset:         80
        .size:           8
        .value_kind:     by_value
      - .address_space:  global
        .offset:         88
        .size:           8
        .value_kind:     global_buffer
      - .offset:         96
        .size:           4
        .value_kind:     by_value
      - .offset:         100
        .size:           1
        .value_kind:     by_value
    .group_segment_fixed_size: 0
    .kernarg_segment_align: 8
    .kernarg_segment_size: 104
    .language:       OpenCL C
    .language_version:
      - 2
      - 0
    .max_flat_workgroup_size: 1024
    .name:           _ZN9rocsparseL22bsrxmvn_general_kernelILj1024ELj32EdiifddEEv20rocsparse_direction_NS_24const_host_device_scalarIT1_EET3_PKS5_PKT2_SA_S7_PKT4_S5_PKT5_S4_PT6_21rocsparse_index_base_b
    .private_segment_fixed_size: 0
    .sgpr_count:     32
    .sgpr_spill_count: 0
    .symbol:         _ZN9rocsparseL22bsrxmvn_general_kernelILj1024ELj32EdiifddEEv20rocsparse_direction_NS_24const_host_device_scalarIT1_EET3_PKS5_PKT2_SA_S7_PKT4_S5_PKT5_S4_PT6_21rocsparse_index_base_b.kd
    .uniform_work_group_size: 1
    .uses_dynamic_stack: false
    .vgpr_count:     28
    .vgpr_spill_count: 0
    .wavefront_size: 32
    .workgroup_processor_mode: 1
  - .args:
      - .offset:         0
        .size:           4
        .value_kind:     by_value
      - .offset:         8
        .size:           8
        .value_kind:     by_value
      - .offset:         16
        .size:           4
        .value_kind:     by_value
      - .actual_access:  read_only
        .address_space:  global
        .offset:         24
        .size:           8
        .value_kind:     global_buffer
      - .actual_access:  read_only
        .address_space:  global
        .offset:         32
        .size:           8
        .value_kind:     global_buffer
      - .actual_access:  read_only
        .address_space:  global
        .offset:         40
        .size:           8
        .value_kind:     global_buffer
      - .actual_access:  read_only
        .address_space:  global
        .offset:         48
        .size:           8
        .value_kind:     global_buffer
      - .actual_access:  read_only
        .address_space:  global
        .offset:         56
        .size:           8
        .value_kind:     global_buffer
      - .offset:         64
        .size:           4
        .value_kind:     by_value
      - .actual_access:  read_only
        .address_space:  global
        .offset:         72
        .size:           8
        .value_kind:     global_buffer
      - .offset:         80
        .size:           8
        .value_kind:     by_value
      - .address_space:  global
        .offset:         88
        .size:           8
        .value_kind:     global_buffer
      - .offset:         96
        .size:           4
        .value_kind:     by_value
      - .offset:         100
        .size:           1
        .value_kind:     by_value
    .group_segment_fixed_size: 0
    .kernarg_segment_align: 8
    .kernarg_segment_size: 104
    .language:       OpenCL C
    .language_version:
      - 2
      - 0
    .max_flat_workgroup_size: 64
    .name:           _ZN9rocsparseL22bsrxmvn_general_kernelILj64ELj8EdlifddEEv20rocsparse_direction_NS_24const_host_device_scalarIT1_EET3_PKS5_PKT2_SA_S7_PKT4_S5_PKT5_S4_PT6_21rocsparse_index_base_b
    .private_segment_fixed_size: 0
    .sgpr_count:     34
    .sgpr_spill_count: 0
    .symbol:         _ZN9rocsparseL22bsrxmvn_general_kernelILj64ELj8EdlifddEEv20rocsparse_direction_NS_24const_host_device_scalarIT1_EET3_PKS5_PKT2_SA_S7_PKT4_S5_PKT5_S4_PT6_21rocsparse_index_base_b.kd
    .uniform_work_group_size: 1
    .uses_dynamic_stack: false
    .vgpr_count:     26
    .vgpr_spill_count: 0
    .wavefront_size: 32
    .workgroup_processor_mode: 1
  - .args:
      - .offset:         0
        .size:           4
        .value_kind:     by_value
      - .offset:         8
        .size:           8
        .value_kind:     by_value
      - .offset:         16
        .size:           4
        .value_kind:     by_value
      - .actual_access:  read_only
        .address_space:  global
        .offset:         24
        .size:           8
        .value_kind:     global_buffer
      - .actual_access:  read_only
        .address_space:  global
        .offset:         32
        .size:           8
        .value_kind:     global_buffer
      - .actual_access:  read_only
        .address_space:  global
        .offset:         40
        .size:           8
        .value_kind:     global_buffer
      - .actual_access:  read_only
        .address_space:  global
        .offset:         48
        .size:           8
        .value_kind:     global_buffer
      - .actual_access:  read_only
        .address_space:  global
        .offset:         56
        .size:           8
        .value_kind:     global_buffer
      - .offset:         64
        .size:           4
        .value_kind:     by_value
      - .actual_access:  read_only
        .address_space:  global
        .offset:         72
        .size:           8
        .value_kind:     global_buffer
      - .offset:         80
        .size:           8
        .value_kind:     by_value
      - .address_space:  global
        .offset:         88
        .size:           8
        .value_kind:     global_buffer
      - .offset:         96
        .size:           4
        .value_kind:     by_value
      - .offset:         100
        .size:           1
        .value_kind:     by_value
    .group_segment_fixed_size: 0
    .kernarg_segment_align: 8
    .kernarg_segment_size: 104
    .language:       OpenCL C
    .language_version:
      - 2
      - 0
    .max_flat_workgroup_size: 256
    .name:           _ZN9rocsparseL22bsrxmvn_general_kernelILj256ELj16EdlifddEEv20rocsparse_direction_NS_24const_host_device_scalarIT1_EET3_PKS5_PKT2_SA_S7_PKT4_S5_PKT5_S4_PT6_21rocsparse_index_base_b
    .private_segment_fixed_size: 0
    .sgpr_count:     34
    .sgpr_spill_count: 0
    .symbol:         _ZN9rocsparseL22bsrxmvn_general_kernelILj256ELj16EdlifddEEv20rocsparse_direction_NS_24const_host_device_scalarIT1_EET3_PKS5_PKT2_SA_S7_PKT4_S5_PKT5_S4_PT6_21rocsparse_index_base_b.kd
    .uniform_work_group_size: 1
    .uses_dynamic_stack: false
    .vgpr_count:     27
    .vgpr_spill_count: 0
    .wavefront_size: 32
    .workgroup_processor_mode: 1
  - .args:
      - .offset:         0
        .size:           4
        .value_kind:     by_value
      - .offset:         8
        .size:           8
        .value_kind:     by_value
      - .offset:         16
        .size:           4
        .value_kind:     by_value
      - .actual_access:  read_only
        .address_space:  global
        .offset:         24
        .size:           8
        .value_kind:     global_buffer
      - .actual_access:  read_only
        .address_space:  global
        .offset:         32
        .size:           8
        .value_kind:     global_buffer
      - .actual_access:  read_only
        .address_space:  global
        .offset:         40
        .size:           8
        .value_kind:     global_buffer
      - .actual_access:  read_only
        .address_space:  global
        .offset:         48
        .size:           8
        .value_kind:     global_buffer
      - .actual_access:  read_only
        .address_space:  global
        .offset:         56
        .size:           8
        .value_kind:     global_buffer
      - .offset:         64
        .size:           4
        .value_kind:     by_value
      - .actual_access:  read_only
        .address_space:  global
        .offset:         72
        .size:           8
        .value_kind:     global_buffer
      - .offset:         80
        .size:           8
        .value_kind:     by_value
      - .address_space:  global
        .offset:         88
        .size:           8
        .value_kind:     global_buffer
      - .offset:         96
        .size:           4
        .value_kind:     by_value
      - .offset:         100
        .size:           1
        .value_kind:     by_value
    .group_segment_fixed_size: 0
    .kernarg_segment_align: 8
    .kernarg_segment_size: 104
    .language:       OpenCL C
    .language_version:
      - 2
      - 0
    .max_flat_workgroup_size: 1024
    .name:           _ZN9rocsparseL22bsrxmvn_general_kernelILj1024ELj32EdlifddEEv20rocsparse_direction_NS_24const_host_device_scalarIT1_EET3_PKS5_PKT2_SA_S7_PKT4_S5_PKT5_S4_PT6_21rocsparse_index_base_b
    .private_segment_fixed_size: 0
    .sgpr_count:     34
    .sgpr_spill_count: 0
    .symbol:         _ZN9rocsparseL22bsrxmvn_general_kernelILj1024ELj32EdlifddEEv20rocsparse_direction_NS_24const_host_device_scalarIT1_EET3_PKS5_PKT2_SA_S7_PKT4_S5_PKT5_S4_PT6_21rocsparse_index_base_b.kd
    .uniform_work_group_size: 1
    .uses_dynamic_stack: false
    .vgpr_count:     28
    .vgpr_spill_count: 0
    .wavefront_size: 32
    .workgroup_processor_mode: 1
  - .args:
      - .offset:         0
        .size:           4
        .value_kind:     by_value
      - .offset:         8
        .size:           8
        .value_kind:     by_value
      - .offset:         16
        .size:           8
        .value_kind:     by_value
      - .actual_access:  read_only
        .address_space:  global
        .offset:         24
        .size:           8
        .value_kind:     global_buffer
      - .actual_access:  read_only
        .address_space:  global
        .offset:         32
        .size:           8
        .value_kind:     global_buffer
      - .actual_access:  read_only
        .address_space:  global
        .offset:         40
        .size:           8
        .value_kind:     global_buffer
      - .actual_access:  read_only
        .address_space:  global
        .offset:         48
        .size:           8
        .value_kind:     global_buffer
      - .actual_access:  read_only
        .address_space:  global
        .offset:         56
        .size:           8
        .value_kind:     global_buffer
      - .offset:         64
        .size:           8
        .value_kind:     by_value
      - .actual_access:  read_only
        .address_space:  global
        .offset:         72
        .size:           8
        .value_kind:     global_buffer
      - .offset:         80
        .size:           8
        .value_kind:     by_value
      - .address_space:  global
        .offset:         88
        .size:           8
        .value_kind:     global_buffer
      - .offset:         96
        .size:           4
        .value_kind:     by_value
      - .offset:         100
        .size:           1
        .value_kind:     by_value
    .group_segment_fixed_size: 0
    .kernarg_segment_align: 8
    .kernarg_segment_size: 104
    .language:       OpenCL C
    .language_version:
      - 2
      - 0
    .max_flat_workgroup_size: 64
    .name:           _ZN9rocsparseL22bsrxmvn_general_kernelILj64ELj8EdllfddEEv20rocsparse_direction_NS_24const_host_device_scalarIT1_EET3_PKS5_PKT2_SA_S7_PKT4_S5_PKT5_S4_PT6_21rocsparse_index_base_b
    .private_segment_fixed_size: 0
    .sgpr_count:     33
    .sgpr_spill_count: 0
    .symbol:         _ZN9rocsparseL22bsrxmvn_general_kernelILj64ELj8EdllfddEEv20rocsparse_direction_NS_24const_host_device_scalarIT1_EET3_PKS5_PKT2_SA_S7_PKT4_S5_PKT5_S4_PT6_21rocsparse_index_base_b.kd
    .uniform_work_group_size: 1
    .uses_dynamic_stack: false
    .vgpr_count:     27
    .vgpr_spill_count: 0
    .wavefront_size: 32
    .workgroup_processor_mode: 1
  - .args:
      - .offset:         0
        .size:           4
        .value_kind:     by_value
      - .offset:         8
        .size:           8
        .value_kind:     by_value
      - .offset:         16
        .size:           8
        .value_kind:     by_value
      - .actual_access:  read_only
        .address_space:  global
        .offset:         24
        .size:           8
        .value_kind:     global_buffer
      - .actual_access:  read_only
        .address_space:  global
        .offset:         32
        .size:           8
        .value_kind:     global_buffer
      - .actual_access:  read_only
        .address_space:  global
        .offset:         40
        .size:           8
        .value_kind:     global_buffer
      - .actual_access:  read_only
        .address_space:  global
        .offset:         48
        .size:           8
        .value_kind:     global_buffer
      - .actual_access:  read_only
        .address_space:  global
        .offset:         56
        .size:           8
        .value_kind:     global_buffer
      - .offset:         64
        .size:           8
        .value_kind:     by_value
      - .actual_access:  read_only
        .address_space:  global
        .offset:         72
        .size:           8
        .value_kind:     global_buffer
      - .offset:         80
        .size:           8
        .value_kind:     by_value
      - .address_space:  global
        .offset:         88
        .size:           8
        .value_kind:     global_buffer
      - .offset:         96
        .size:           4
        .value_kind:     by_value
      - .offset:         100
        .size:           1
        .value_kind:     by_value
    .group_segment_fixed_size: 0
    .kernarg_segment_align: 8
    .kernarg_segment_size: 104
    .language:       OpenCL C
    .language_version:
      - 2
      - 0
    .max_flat_workgroup_size: 256
    .name:           _ZN9rocsparseL22bsrxmvn_general_kernelILj256ELj16EdllfddEEv20rocsparse_direction_NS_24const_host_device_scalarIT1_EET3_PKS5_PKT2_SA_S7_PKT4_S5_PKT5_S4_PT6_21rocsparse_index_base_b
    .private_segment_fixed_size: 0
    .sgpr_count:     36
    .sgpr_spill_count: 0
    .symbol:         _ZN9rocsparseL22bsrxmvn_general_kernelILj256ELj16EdllfddEEv20rocsparse_direction_NS_24const_host_device_scalarIT1_EET3_PKS5_PKT2_SA_S7_PKT4_S5_PKT5_S4_PT6_21rocsparse_index_base_b.kd
    .uniform_work_group_size: 1
    .uses_dynamic_stack: false
    .vgpr_count:     28
    .vgpr_spill_count: 0
    .wavefront_size: 32
    .workgroup_processor_mode: 1
  - .args:
      - .offset:         0
        .size:           4
        .value_kind:     by_value
      - .offset:         8
        .size:           8
        .value_kind:     by_value
      - .offset:         16
        .size:           8
        .value_kind:     by_value
      - .actual_access:  read_only
        .address_space:  global
        .offset:         24
        .size:           8
        .value_kind:     global_buffer
      - .actual_access:  read_only
        .address_space:  global
        .offset:         32
        .size:           8
        .value_kind:     global_buffer
      - .actual_access:  read_only
        .address_space:  global
        .offset:         40
        .size:           8
        .value_kind:     global_buffer
      - .actual_access:  read_only
        .address_space:  global
        .offset:         48
        .size:           8
        .value_kind:     global_buffer
      - .actual_access:  read_only
        .address_space:  global
        .offset:         56
        .size:           8
        .value_kind:     global_buffer
      - .offset:         64
        .size:           8
        .value_kind:     by_value
      - .actual_access:  read_only
        .address_space:  global
        .offset:         72
        .size:           8
        .value_kind:     global_buffer
      - .offset:         80
        .size:           8
        .value_kind:     by_value
      - .address_space:  global
        .offset:         88
        .size:           8
        .value_kind:     global_buffer
      - .offset:         96
        .size:           4
        .value_kind:     by_value
      - .offset:         100
        .size:           1
        .value_kind:     by_value
    .group_segment_fixed_size: 0
    .kernarg_segment_align: 8
    .kernarg_segment_size: 104
    .language:       OpenCL C
    .language_version:
      - 2
      - 0
    .max_flat_workgroup_size: 1024
    .name:           _ZN9rocsparseL22bsrxmvn_general_kernelILj1024ELj32EdllfddEEv20rocsparse_direction_NS_24const_host_device_scalarIT1_EET3_PKS5_PKT2_SA_S7_PKT4_S5_PKT5_S4_PT6_21rocsparse_index_base_b
    .private_segment_fixed_size: 0
    .sgpr_count:     36
    .sgpr_spill_count: 0
    .symbol:         _ZN9rocsparseL22bsrxmvn_general_kernelILj1024ELj32EdllfddEEv20rocsparse_direction_NS_24const_host_device_scalarIT1_EET3_PKS5_PKT2_SA_S7_PKT4_S5_PKT5_S4_PT6_21rocsparse_index_base_b.kd
    .uniform_work_group_size: 1
    .uses_dynamic_stack: false
    .vgpr_count:     29
    .vgpr_spill_count: 0
    .wavefront_size: 32
    .workgroup_processor_mode: 1
  - .args:
      - .offset:         0
        .size:           4
        .value_kind:     by_value
      - .offset:         8
        .size:           16
        .value_kind:     by_value
      - .offset:         24
        .size:           4
        .value_kind:     by_value
      - .actual_access:  read_only
        .address_space:  global
        .offset:         32
        .size:           8
        .value_kind:     global_buffer
      - .actual_access:  read_only
        .address_space:  global
        .offset:         40
        .size:           8
        .value_kind:     global_buffer
      - .actual_access:  read_only
        .address_space:  global
        .offset:         48
        .size:           8
        .value_kind:     global_buffer
      - .actual_access:  read_only
        .address_space:  global
        .offset:         56
        .size:           8
        .value_kind:     global_buffer
      - .actual_access:  read_only
        .address_space:  global
        .offset:         64
        .size:           8
        .value_kind:     global_buffer
      - .offset:         72
        .size:           4
        .value_kind:     by_value
      - .actual_access:  read_only
        .address_space:  global
        .offset:         80
        .size:           8
        .value_kind:     global_buffer
      - .offset:         88
        .size:           16
        .value_kind:     by_value
      - .address_space:  global
        .offset:         104
        .size:           8
        .value_kind:     global_buffer
      - .offset:         112
        .size:           4
        .value_kind:     by_value
      - .offset:         116
        .size:           1
        .value_kind:     by_value
    .group_segment_fixed_size: 0
    .kernarg_segment_align: 8
    .kernarg_segment_size: 120
    .language:       OpenCL C
    .language_version:
      - 2
      - 0
    .max_flat_workgroup_size: 64
    .name:           _ZN9rocsparseL22bsrxmvn_general_kernelILj64ELj8E21rocsparse_complex_numIdEiidS2_S2_EEv20rocsparse_direction_NS_24const_host_device_scalarIT1_EET3_PKS7_PKT2_SC_S9_PKT4_S7_PKT5_S6_PT6_21rocsparse_index_base_b
    .private_segment_fixed_size: 0
    .sgpr_count:     32
    .sgpr_spill_count: 0
    .symbol:         _ZN9rocsparseL22bsrxmvn_general_kernelILj64ELj8E21rocsparse_complex_numIdEiidS2_S2_EEv20rocsparse_direction_NS_24const_host_device_scalarIT1_EET3_PKS7_PKT2_SC_S9_PKT4_S7_PKT5_S6_PT6_21rocsparse_index_base_b.kd
    .uniform_work_group_size: 1
    .uses_dynamic_stack: false
    .vgpr_count:     34
    .vgpr_spill_count: 0
    .wavefront_size: 32
    .workgroup_processor_mode: 1
  - .args:
      - .offset:         0
        .size:           4
        .value_kind:     by_value
      - .offset:         8
        .size:           16
        .value_kind:     by_value
      - .offset:         24
        .size:           4
        .value_kind:     by_value
      - .actual_access:  read_only
        .address_space:  global
        .offset:         32
        .size:           8
        .value_kind:     global_buffer
      - .actual_access:  read_only
        .address_space:  global
        .offset:         40
        .size:           8
        .value_kind:     global_buffer
      - .actual_access:  read_only
        .address_space:  global
        .offset:         48
        .size:           8
        .value_kind:     global_buffer
      - .actual_access:  read_only
        .address_space:  global
        .offset:         56
        .size:           8
        .value_kind:     global_buffer
      - .actual_access:  read_only
        .address_space:  global
        .offset:         64
        .size:           8
        .value_kind:     global_buffer
      - .offset:         72
        .size:           4
        .value_kind:     by_value
      - .actual_access:  read_only
        .address_space:  global
        .offset:         80
        .size:           8
        .value_kind:     global_buffer
      - .offset:         88
        .size:           16
        .value_kind:     by_value
      - .address_space:  global
        .offset:         104
        .size:           8
        .value_kind:     global_buffer
      - .offset:         112
        .size:           4
        .value_kind:     by_value
      - .offset:         116
        .size:           1
        .value_kind:     by_value
    .group_segment_fixed_size: 0
    .kernarg_segment_align: 8
    .kernarg_segment_size: 120
    .language:       OpenCL C
    .language_version:
      - 2
      - 0
    .max_flat_workgroup_size: 256
    .name:           _ZN9rocsparseL22bsrxmvn_general_kernelILj256ELj16E21rocsparse_complex_numIdEiidS2_S2_EEv20rocsparse_direction_NS_24const_host_device_scalarIT1_EET3_PKS7_PKT2_SC_S9_PKT4_S7_PKT5_S6_PT6_21rocsparse_index_base_b
    .private_segment_fixed_size: 0
    .sgpr_count:     32
    .sgpr_spill_count: 0
    .symbol:         _ZN9rocsparseL22bsrxmvn_general_kernelILj256ELj16E21rocsparse_complex_numIdEiidS2_S2_EEv20rocsparse_direction_NS_24const_host_device_scalarIT1_EET3_PKS7_PKT2_SC_S9_PKT4_S7_PKT5_S6_PT6_21rocsparse_index_base_b.kd
    .uniform_work_group_size: 1
    .uses_dynamic_stack: false
    .vgpr_count:     35
    .vgpr_spill_count: 0
    .wavefront_size: 32
    .workgroup_processor_mode: 1
  - .args:
      - .offset:         0
        .size:           4
        .value_kind:     by_value
      - .offset:         8
        .size:           16
        .value_kind:     by_value
      - .offset:         24
        .size:           4
        .value_kind:     by_value
      - .actual_access:  read_only
        .address_space:  global
        .offset:         32
        .size:           8
        .value_kind:     global_buffer
      - .actual_access:  read_only
        .address_space:  global
        .offset:         40
        .size:           8
        .value_kind:     global_buffer
      - .actual_access:  read_only
        .address_space:  global
        .offset:         48
        .size:           8
        .value_kind:     global_buffer
      - .actual_access:  read_only
        .address_space:  global
        .offset:         56
        .size:           8
        .value_kind:     global_buffer
      - .actual_access:  read_only
        .address_space:  global
        .offset:         64
        .size:           8
        .value_kind:     global_buffer
      - .offset:         72
        .size:           4
        .value_kind:     by_value
      - .actual_access:  read_only
        .address_space:  global
        .offset:         80
        .size:           8
        .value_kind:     global_buffer
      - .offset:         88
        .size:           16
        .value_kind:     by_value
      - .address_space:  global
        .offset:         104
        .size:           8
        .value_kind:     global_buffer
      - .offset:         112
        .size:           4
        .value_kind:     by_value
      - .offset:         116
        .size:           1
        .value_kind:     by_value
    .group_segment_fixed_size: 0
    .kernarg_segment_align: 8
    .kernarg_segment_size: 120
    .language:       OpenCL C
    .language_version:
      - 2
      - 0
    .max_flat_workgroup_size: 1024
    .name:           _ZN9rocsparseL22bsrxmvn_general_kernelILj1024ELj32E21rocsparse_complex_numIdEiidS2_S2_EEv20rocsparse_direction_NS_24const_host_device_scalarIT1_EET3_PKS7_PKT2_SC_S9_PKT4_S7_PKT5_S6_PT6_21rocsparse_index_base_b
    .private_segment_fixed_size: 0
    .sgpr_count:     32
    .sgpr_spill_count: 0
    .symbol:         _ZN9rocsparseL22bsrxmvn_general_kernelILj1024ELj32E21rocsparse_complex_numIdEiidS2_S2_EEv20rocsparse_direction_NS_24const_host_device_scalarIT1_EET3_PKS7_PKT2_SC_S9_PKT4_S7_PKT5_S6_PT6_21rocsparse_index_base_b.kd
    .uniform_work_group_size: 1
    .uses_dynamic_stack: false
    .vgpr_count:     36
    .vgpr_spill_count: 0
    .wavefront_size: 32
    .workgroup_processor_mode: 1
  - .args:
      - .offset:         0
        .size:           4
        .value_kind:     by_value
      - .offset:         8
        .size:           16
        .value_kind:     by_value
      - .offset:         24
        .size:           4
        .value_kind:     by_value
      - .actual_access:  read_only
        .address_space:  global
        .offset:         32
        .size:           8
        .value_kind:     global_buffer
      - .actual_access:  read_only
        .address_space:  global
        .offset:         40
        .size:           8
        .value_kind:     global_buffer
      - .actual_access:  read_only
        .address_space:  global
        .offset:         48
        .size:           8
        .value_kind:     global_buffer
      - .actual_access:  read_only
        .address_space:  global
        .offset:         56
        .size:           8
        .value_kind:     global_buffer
      - .actual_access:  read_only
        .address_space:  global
        .offset:         64
        .size:           8
        .value_kind:     global_buffer
      - .offset:         72
        .size:           4
        .value_kind:     by_value
      - .actual_access:  read_only
        .address_space:  global
        .offset:         80
        .size:           8
        .value_kind:     global_buffer
      - .offset:         88
        .size:           16
        .value_kind:     by_value
      - .address_space:  global
        .offset:         104
        .size:           8
        .value_kind:     global_buffer
      - .offset:         112
        .size:           4
        .value_kind:     by_value
      - .offset:         116
        .size:           1
        .value_kind:     by_value
    .group_segment_fixed_size: 0
    .kernarg_segment_align: 8
    .kernarg_segment_size: 120
    .language:       OpenCL C
    .language_version:
      - 2
      - 0
    .max_flat_workgroup_size: 64
    .name:           _ZN9rocsparseL22bsrxmvn_general_kernelILj64ELj8E21rocsparse_complex_numIdElidS2_S2_EEv20rocsparse_direction_NS_24const_host_device_scalarIT1_EET3_PKS7_PKT2_SC_S9_PKT4_S7_PKT5_S6_PT6_21rocsparse_index_base_b
    .private_segment_fixed_size: 0
    .sgpr_count:     34
    .sgpr_spill_count: 0
    .symbol:         _ZN9rocsparseL22bsrxmvn_general_kernelILj64ELj8E21rocsparse_complex_numIdElidS2_S2_EEv20rocsparse_direction_NS_24const_host_device_scalarIT1_EET3_PKS7_PKT2_SC_S9_PKT4_S7_PKT5_S6_PT6_21rocsparse_index_base_b.kd
    .uniform_work_group_size: 1
    .uses_dynamic_stack: false
    .vgpr_count:     34
    .vgpr_spill_count: 0
    .wavefront_size: 32
    .workgroup_processor_mode: 1
  - .args:
      - .offset:         0
        .size:           4
        .value_kind:     by_value
      - .offset:         8
        .size:           16
        .value_kind:     by_value
      - .offset:         24
        .size:           4
        .value_kind:     by_value
      - .actual_access:  read_only
        .address_space:  global
        .offset:         32
        .size:           8
        .value_kind:     global_buffer
      - .actual_access:  read_only
        .address_space:  global
        .offset:         40
        .size:           8
        .value_kind:     global_buffer
      - .actual_access:  read_only
        .address_space:  global
        .offset:         48
        .size:           8
        .value_kind:     global_buffer
      - .actual_access:  read_only
        .address_space:  global
        .offset:         56
        .size:           8
        .value_kind:     global_buffer
      - .actual_access:  read_only
        .address_space:  global
        .offset:         64
        .size:           8
        .value_kind:     global_buffer
      - .offset:         72
        .size:           4
        .value_kind:     by_value
      - .actual_access:  read_only
        .address_space:  global
        .offset:         80
        .size:           8
        .value_kind:     global_buffer
      - .offset:         88
        .size:           16
        .value_kind:     by_value
      - .address_space:  global
        .offset:         104
        .size:           8
        .value_kind:     global_buffer
      - .offset:         112
        .size:           4
        .value_kind:     by_value
      - .offset:         116
        .size:           1
        .value_kind:     by_value
    .group_segment_fixed_size: 0
    .kernarg_segment_align: 8
    .kernarg_segment_size: 120
    .language:       OpenCL C
    .language_version:
      - 2
      - 0
    .max_flat_workgroup_size: 256
    .name:           _ZN9rocsparseL22bsrxmvn_general_kernelILj256ELj16E21rocsparse_complex_numIdElidS2_S2_EEv20rocsparse_direction_NS_24const_host_device_scalarIT1_EET3_PKS7_PKT2_SC_S9_PKT4_S7_PKT5_S6_PT6_21rocsparse_index_base_b
    .private_segment_fixed_size: 0
    .sgpr_count:     34
    .sgpr_spill_count: 0
    .symbol:         _ZN9rocsparseL22bsrxmvn_general_kernelILj256ELj16E21rocsparse_complex_numIdElidS2_S2_EEv20rocsparse_direction_NS_24const_host_device_scalarIT1_EET3_PKS7_PKT2_SC_S9_PKT4_S7_PKT5_S6_PT6_21rocsparse_index_base_b.kd
    .uniform_work_group_size: 1
    .uses_dynamic_stack: false
    .vgpr_count:     35
    .vgpr_spill_count: 0
    .wavefront_size: 32
    .workgroup_processor_mode: 1
  - .args:
      - .offset:         0
        .size:           4
        .value_kind:     by_value
      - .offset:         8
        .size:           16
        .value_kind:     by_value
      - .offset:         24
        .size:           4
        .value_kind:     by_value
      - .actual_access:  read_only
        .address_space:  global
        .offset:         32
        .size:           8
        .value_kind:     global_buffer
      - .actual_access:  read_only
        .address_space:  global
        .offset:         40
        .size:           8
        .value_kind:     global_buffer
      - .actual_access:  read_only
        .address_space:  global
        .offset:         48
        .size:           8
        .value_kind:     global_buffer
      - .actual_access:  read_only
        .address_space:  global
        .offset:         56
        .size:           8
        .value_kind:     global_buffer
      - .actual_access:  read_only
        .address_space:  global
        .offset:         64
        .size:           8
        .value_kind:     global_buffer
      - .offset:         72
        .size:           4
        .value_kind:     by_value
      - .actual_access:  read_only
        .address_space:  global
        .offset:         80
        .size:           8
        .value_kind:     global_buffer
      - .offset:         88
        .size:           16
        .value_kind:     by_value
      - .address_space:  global
        .offset:         104
        .size:           8
        .value_kind:     global_buffer
      - .offset:         112
        .size:           4
        .value_kind:     by_value
      - .offset:         116
        .size:           1
        .value_kind:     by_value
    .group_segment_fixed_size: 0
    .kernarg_segment_align: 8
    .kernarg_segment_size: 120
    .language:       OpenCL C
    .language_version:
      - 2
      - 0
    .max_flat_workgroup_size: 1024
    .name:           _ZN9rocsparseL22bsrxmvn_general_kernelILj1024ELj32E21rocsparse_complex_numIdElidS2_S2_EEv20rocsparse_direction_NS_24const_host_device_scalarIT1_EET3_PKS7_PKT2_SC_S9_PKT4_S7_PKT5_S6_PT6_21rocsparse_index_base_b
    .private_segment_fixed_size: 0
    .sgpr_count:     34
    .sgpr_spill_count: 0
    .symbol:         _ZN9rocsparseL22bsrxmvn_general_kernelILj1024ELj32E21rocsparse_complex_numIdElidS2_S2_EEv20rocsparse_direction_NS_24const_host_device_scalarIT1_EET3_PKS7_PKT2_SC_S9_PKT4_S7_PKT5_S6_PT6_21rocsparse_index_base_b.kd
    .uniform_work_group_size: 1
    .uses_dynamic_stack: false
    .vgpr_count:     36
    .vgpr_spill_count: 0
    .wavefront_size: 32
    .workgroup_processor_mode: 1
  - .args:
      - .offset:         0
        .size:           4
        .value_kind:     by_value
      - .offset:         8
        .size:           16
        .value_kind:     by_value
      - .offset:         24
        .size:           8
        .value_kind:     by_value
      - .actual_access:  read_only
        .address_space:  global
        .offset:         32
        .size:           8
        .value_kind:     global_buffer
      - .actual_access:  read_only
        .address_space:  global
        .offset:         40
        .size:           8
        .value_kind:     global_buffer
      - .actual_access:  read_only
        .address_space:  global
        .offset:         48
        .size:           8
        .value_kind:     global_buffer
      - .actual_access:  read_only
        .address_space:  global
        .offset:         56
        .size:           8
        .value_kind:     global_buffer
      - .actual_access:  read_only
        .address_space:  global
        .offset:         64
        .size:           8
        .value_kind:     global_buffer
      - .offset:         72
        .size:           8
        .value_kind:     by_value
      - .actual_access:  read_only
        .address_space:  global
        .offset:         80
        .size:           8
        .value_kind:     global_buffer
      - .offset:         88
        .size:           16
        .value_kind:     by_value
      - .address_space:  global
        .offset:         104
        .size:           8
        .value_kind:     global_buffer
      - .offset:         112
        .size:           4
        .value_kind:     by_value
      - .offset:         116
        .size:           1
        .value_kind:     by_value
    .group_segment_fixed_size: 0
    .kernarg_segment_align: 8
    .kernarg_segment_size: 120
    .language:       OpenCL C
    .language_version:
      - 2
      - 0
    .max_flat_workgroup_size: 64
    .name:           _ZN9rocsparseL22bsrxmvn_general_kernelILj64ELj8E21rocsparse_complex_numIdElldS2_S2_EEv20rocsparse_direction_NS_24const_host_device_scalarIT1_EET3_PKS7_PKT2_SC_S9_PKT4_S7_PKT5_S6_PT6_21rocsparse_index_base_b
    .private_segment_fixed_size: 0
    .sgpr_count:     36
    .sgpr_spill_count: 0
    .symbol:         _ZN9rocsparseL22bsrxmvn_general_kernelILj64ELj8E21rocsparse_complex_numIdElldS2_S2_EEv20rocsparse_direction_NS_24const_host_device_scalarIT1_EET3_PKS7_PKT2_SC_S9_PKT4_S7_PKT5_S6_PT6_21rocsparse_index_base_b.kd
    .uniform_work_group_size: 1
    .uses_dynamic_stack: false
    .vgpr_count:     35
    .vgpr_spill_count: 0
    .wavefront_size: 32
    .workgroup_processor_mode: 1
  - .args:
      - .offset:         0
        .size:           4
        .value_kind:     by_value
      - .offset:         8
        .size:           16
        .value_kind:     by_value
      - .offset:         24
        .size:           8
        .value_kind:     by_value
      - .actual_access:  read_only
        .address_space:  global
        .offset:         32
        .size:           8
        .value_kind:     global_buffer
      - .actual_access:  read_only
        .address_space:  global
        .offset:         40
        .size:           8
        .value_kind:     global_buffer
      - .actual_access:  read_only
        .address_space:  global
        .offset:         48
        .size:           8
        .value_kind:     global_buffer
      - .actual_access:  read_only
        .address_space:  global
        .offset:         56
        .size:           8
        .value_kind:     global_buffer
      - .actual_access:  read_only
        .address_space:  global
        .offset:         64
        .size:           8
        .value_kind:     global_buffer
      - .offset:         72
        .size:           8
        .value_kind:     by_value
      - .actual_access:  read_only
        .address_space:  global
        .offset:         80
        .size:           8
        .value_kind:     global_buffer
      - .offset:         88
        .size:           16
        .value_kind:     by_value
      - .address_space:  global
        .offset:         104
        .size:           8
        .value_kind:     global_buffer
      - .offset:         112
        .size:           4
        .value_kind:     by_value
      - .offset:         116
        .size:           1
        .value_kind:     by_value
    .group_segment_fixed_size: 0
    .kernarg_segment_align: 8
    .kernarg_segment_size: 120
    .language:       OpenCL C
    .language_version:
      - 2
      - 0
    .max_flat_workgroup_size: 256
    .name:           _ZN9rocsparseL22bsrxmvn_general_kernelILj256ELj16E21rocsparse_complex_numIdElldS2_S2_EEv20rocsparse_direction_NS_24const_host_device_scalarIT1_EET3_PKS7_PKT2_SC_S9_PKT4_S7_PKT5_S6_PT6_21rocsparse_index_base_b
    .private_segment_fixed_size: 0
    .sgpr_count:     33
    .sgpr_spill_count: 0
    .symbol:         _ZN9rocsparseL22bsrxmvn_general_kernelILj256ELj16E21rocsparse_complex_numIdElldS2_S2_EEv20rocsparse_direction_NS_24const_host_device_scalarIT1_EET3_PKS7_PKT2_SC_S9_PKT4_S7_PKT5_S6_PT6_21rocsparse_index_base_b.kd
    .uniform_work_group_size: 1
    .uses_dynamic_stack: false
    .vgpr_count:     36
    .vgpr_spill_count: 0
    .wavefront_size: 32
    .workgroup_processor_mode: 1
  - .args:
      - .offset:         0
        .size:           4
        .value_kind:     by_value
      - .offset:         8
        .size:           16
        .value_kind:     by_value
      - .offset:         24
        .size:           8
        .value_kind:     by_value
      - .actual_access:  read_only
        .address_space:  global
        .offset:         32
        .size:           8
        .value_kind:     global_buffer
      - .actual_access:  read_only
        .address_space:  global
        .offset:         40
        .size:           8
        .value_kind:     global_buffer
      - .actual_access:  read_only
        .address_space:  global
        .offset:         48
        .size:           8
        .value_kind:     global_buffer
      - .actual_access:  read_only
        .address_space:  global
        .offset:         56
        .size:           8
        .value_kind:     global_buffer
      - .actual_access:  read_only
        .address_space:  global
        .offset:         64
        .size:           8
        .value_kind:     global_buffer
      - .offset:         72
        .size:           8
        .value_kind:     by_value
      - .actual_access:  read_only
        .address_space:  global
        .offset:         80
        .size:           8
        .value_kind:     global_buffer
      - .offset:         88
        .size:           16
        .value_kind:     by_value
      - .address_space:  global
        .offset:         104
        .size:           8
        .value_kind:     global_buffer
      - .offset:         112
        .size:           4
        .value_kind:     by_value
      - .offset:         116
        .size:           1
        .value_kind:     by_value
    .group_segment_fixed_size: 0
    .kernarg_segment_align: 8
    .kernarg_segment_size: 120
    .language:       OpenCL C
    .language_version:
      - 2
      - 0
    .max_flat_workgroup_size: 1024
    .name:           _ZN9rocsparseL22bsrxmvn_general_kernelILj1024ELj32E21rocsparse_complex_numIdElldS2_S2_EEv20rocsparse_direction_NS_24const_host_device_scalarIT1_EET3_PKS7_PKT2_SC_S9_PKT4_S7_PKT5_S6_PT6_21rocsparse_index_base_b
    .private_segment_fixed_size: 0
    .sgpr_count:     36
    .sgpr_spill_count: 0
    .symbol:         _ZN9rocsparseL22bsrxmvn_general_kernelILj1024ELj32E21rocsparse_complex_numIdElldS2_S2_EEv20rocsparse_direction_NS_24const_host_device_scalarIT1_EET3_PKS7_PKT2_SC_S9_PKT4_S7_PKT5_S6_PT6_21rocsparse_index_base_b.kd
    .uniform_work_group_size: 1
    .uses_dynamic_stack: false
    .vgpr_count:     37
    .vgpr_spill_count: 0
    .wavefront_size: 32
    .workgroup_processor_mode: 1
  - .args:
      - .offset:         0
        .size:           4
        .value_kind:     by_value
      - .offset:         8
        .size:           16
        .value_kind:     by_value
      - .offset:         24
        .size:           4
        .value_kind:     by_value
      - .actual_access:  read_only
        .address_space:  global
        .offset:         32
        .size:           8
        .value_kind:     global_buffer
      - .actual_access:  read_only
        .address_space:  global
        .offset:         40
        .size:           8
        .value_kind:     global_buffer
      - .actual_access:  read_only
        .address_space:  global
        .offset:         48
        .size:           8
        .value_kind:     global_buffer
      - .actual_access:  read_only
        .address_space:  global
        .offset:         56
        .size:           8
        .value_kind:     global_buffer
      - .actual_access:  read_only
        .address_space:  global
        .offset:         64
        .size:           8
        .value_kind:     global_buffer
      - .offset:         72
        .size:           4
        .value_kind:     by_value
      - .actual_access:  read_only
        .address_space:  global
        .offset:         80
        .size:           8
        .value_kind:     global_buffer
      - .offset:         88
        .size:           16
        .value_kind:     by_value
      - .address_space:  global
        .offset:         104
        .size:           8
        .value_kind:     global_buffer
      - .offset:         112
        .size:           4
        .value_kind:     by_value
      - .offset:         116
        .size:           1
        .value_kind:     by_value
    .group_segment_fixed_size: 0
    .kernarg_segment_align: 8
    .kernarg_segment_size: 120
    .language:       OpenCL C
    .language_version:
      - 2
      - 0
    .max_flat_workgroup_size: 64
    .name:           _ZN9rocsparseL22bsrxmvn_general_kernelILj64ELj8E21rocsparse_complex_numIdEiiS1_IfES2_S2_EEv20rocsparse_direction_NS_24const_host_device_scalarIT1_EET3_PKS8_PKT2_SD_SA_PKT4_S8_PKT5_S7_PT6_21rocsparse_index_base_b
    .private_segment_fixed_size: 0
    .sgpr_count:     32
    .sgpr_spill_count: 0
    .symbol:         _ZN9rocsparseL22bsrxmvn_general_kernelILj64ELj8E21rocsparse_complex_numIdEiiS1_IfES2_S2_EEv20rocsparse_direction_NS_24const_host_device_scalarIT1_EET3_PKS8_PKT2_SD_SA_PKT4_S8_PKT5_S7_PT6_21rocsparse_index_base_b.kd
    .uniform_work_group_size: 1
    .uses_dynamic_stack: false
    .vgpr_count:     36
    .vgpr_spill_count: 0
    .wavefront_size: 32
    .workgroup_processor_mode: 1
  - .args:
      - .offset:         0
        .size:           4
        .value_kind:     by_value
      - .offset:         8
        .size:           16
        .value_kind:     by_value
      - .offset:         24
        .size:           4
        .value_kind:     by_value
      - .actual_access:  read_only
        .address_space:  global
        .offset:         32
        .size:           8
        .value_kind:     global_buffer
      - .actual_access:  read_only
        .address_space:  global
        .offset:         40
        .size:           8
        .value_kind:     global_buffer
      - .actual_access:  read_only
        .address_space:  global
        .offset:         48
        .size:           8
        .value_kind:     global_buffer
      - .actual_access:  read_only
        .address_space:  global
        .offset:         56
        .size:           8
        .value_kind:     global_buffer
      - .actual_access:  read_only
        .address_space:  global
        .offset:         64
        .size:           8
        .value_kind:     global_buffer
      - .offset:         72
        .size:           4
        .value_kind:     by_value
      - .actual_access:  read_only
        .address_space:  global
        .offset:         80
        .size:           8
        .value_kind:     global_buffer
      - .offset:         88
        .size:           16
        .value_kind:     by_value
      - .address_space:  global
        .offset:         104
        .size:           8
        .value_kind:     global_buffer
      - .offset:         112
        .size:           4
        .value_kind:     by_value
      - .offset:         116
        .size:           1
        .value_kind:     by_value
    .group_segment_fixed_size: 0
    .kernarg_segment_align: 8
    .kernarg_segment_size: 120
    .language:       OpenCL C
    .language_version:
      - 2
      - 0
    .max_flat_workgroup_size: 256
    .name:           _ZN9rocsparseL22bsrxmvn_general_kernelILj256ELj16E21rocsparse_complex_numIdEiiS1_IfES2_S2_EEv20rocsparse_direction_NS_24const_host_device_scalarIT1_EET3_PKS8_PKT2_SD_SA_PKT4_S8_PKT5_S7_PT6_21rocsparse_index_base_b
    .private_segment_fixed_size: 0
    .sgpr_count:     32
    .sgpr_spill_count: 0
    .symbol:         _ZN9rocsparseL22bsrxmvn_general_kernelILj256ELj16E21rocsparse_complex_numIdEiiS1_IfES2_S2_EEv20rocsparse_direction_NS_24const_host_device_scalarIT1_EET3_PKS8_PKT2_SD_SA_PKT4_S8_PKT5_S7_PT6_21rocsparse_index_base_b.kd
    .uniform_work_group_size: 1
    .uses_dynamic_stack: false
    .vgpr_count:     37
    .vgpr_spill_count: 0
    .wavefront_size: 32
    .workgroup_processor_mode: 1
  - .args:
      - .offset:         0
        .size:           4
        .value_kind:     by_value
      - .offset:         8
        .size:           16
        .value_kind:     by_value
      - .offset:         24
        .size:           4
        .value_kind:     by_value
      - .actual_access:  read_only
        .address_space:  global
        .offset:         32
        .size:           8
        .value_kind:     global_buffer
      - .actual_access:  read_only
        .address_space:  global
        .offset:         40
        .size:           8
        .value_kind:     global_buffer
      - .actual_access:  read_only
        .address_space:  global
        .offset:         48
        .size:           8
        .value_kind:     global_buffer
      - .actual_access:  read_only
        .address_space:  global
        .offset:         56
        .size:           8
        .value_kind:     global_buffer
      - .actual_access:  read_only
        .address_space:  global
        .offset:         64
        .size:           8
        .value_kind:     global_buffer
      - .offset:         72
        .size:           4
        .value_kind:     by_value
      - .actual_access:  read_only
        .address_space:  global
        .offset:         80
        .size:           8
        .value_kind:     global_buffer
      - .offset:         88
        .size:           16
        .value_kind:     by_value
      - .address_space:  global
        .offset:         104
        .size:           8
        .value_kind:     global_buffer
      - .offset:         112
        .size:           4
        .value_kind:     by_value
      - .offset:         116
        .size:           1
        .value_kind:     by_value
    .group_segment_fixed_size: 0
    .kernarg_segment_align: 8
    .kernarg_segment_size: 120
    .language:       OpenCL C
    .language_version:
      - 2
      - 0
    .max_flat_workgroup_size: 1024
    .name:           _ZN9rocsparseL22bsrxmvn_general_kernelILj1024ELj32E21rocsparse_complex_numIdEiiS1_IfES2_S2_EEv20rocsparse_direction_NS_24const_host_device_scalarIT1_EET3_PKS8_PKT2_SD_SA_PKT4_S8_PKT5_S7_PT6_21rocsparse_index_base_b
    .private_segment_fixed_size: 0
    .sgpr_count:     32
    .sgpr_spill_count: 0
    .symbol:         _ZN9rocsparseL22bsrxmvn_general_kernelILj1024ELj32E21rocsparse_complex_numIdEiiS1_IfES2_S2_EEv20rocsparse_direction_NS_24const_host_device_scalarIT1_EET3_PKS8_PKT2_SD_SA_PKT4_S8_PKT5_S7_PT6_21rocsparse_index_base_b.kd
    .uniform_work_group_size: 1
    .uses_dynamic_stack: false
    .vgpr_count:     38
    .vgpr_spill_count: 0
    .wavefront_size: 32
    .workgroup_processor_mode: 1
  - .args:
      - .offset:         0
        .size:           4
        .value_kind:     by_value
      - .offset:         8
        .size:           16
        .value_kind:     by_value
      - .offset:         24
        .size:           4
        .value_kind:     by_value
      - .actual_access:  read_only
        .address_space:  global
        .offset:         32
        .size:           8
        .value_kind:     global_buffer
      - .actual_access:  read_only
        .address_space:  global
        .offset:         40
        .size:           8
        .value_kind:     global_buffer
      - .actual_access:  read_only
        .address_space:  global
        .offset:         48
        .size:           8
        .value_kind:     global_buffer
      - .actual_access:  read_only
        .address_space:  global
        .offset:         56
        .size:           8
        .value_kind:     global_buffer
      - .actual_access:  read_only
        .address_space:  global
        .offset:         64
        .size:           8
        .value_kind:     global_buffer
      - .offset:         72
        .size:           4
        .value_kind:     by_value
      - .actual_access:  read_only
        .address_space:  global
        .offset:         80
        .size:           8
        .value_kind:     global_buffer
      - .offset:         88
        .size:           16
        .value_kind:     by_value
      - .address_space:  global
        .offset:         104
        .size:           8
        .value_kind:     global_buffer
      - .offset:         112
        .size:           4
        .value_kind:     by_value
      - .offset:         116
        .size:           1
        .value_kind:     by_value
    .group_segment_fixed_size: 0
    .kernarg_segment_align: 8
    .kernarg_segment_size: 120
    .language:       OpenCL C
    .language_version:
      - 2
      - 0
    .max_flat_workgroup_size: 64
    .name:           _ZN9rocsparseL22bsrxmvn_general_kernelILj64ELj8E21rocsparse_complex_numIdEliS1_IfES2_S2_EEv20rocsparse_direction_NS_24const_host_device_scalarIT1_EET3_PKS8_PKT2_SD_SA_PKT4_S8_PKT5_S7_PT6_21rocsparse_index_base_b
    .private_segment_fixed_size: 0
    .sgpr_count:     34
    .sgpr_spill_count: 0
    .symbol:         _ZN9rocsparseL22bsrxmvn_general_kernelILj64ELj8E21rocsparse_complex_numIdEliS1_IfES2_S2_EEv20rocsparse_direction_NS_24const_host_device_scalarIT1_EET3_PKS8_PKT2_SD_SA_PKT4_S8_PKT5_S7_PT6_21rocsparse_index_base_b.kd
    .uniform_work_group_size: 1
    .uses_dynamic_stack: false
    .vgpr_count:     36
    .vgpr_spill_count: 0
    .wavefront_size: 32
    .workgroup_processor_mode: 1
  - .args:
      - .offset:         0
        .size:           4
        .value_kind:     by_value
      - .offset:         8
        .size:           16
        .value_kind:     by_value
      - .offset:         24
        .size:           4
        .value_kind:     by_value
      - .actual_access:  read_only
        .address_space:  global
        .offset:         32
        .size:           8
        .value_kind:     global_buffer
      - .actual_access:  read_only
        .address_space:  global
        .offset:         40
        .size:           8
        .value_kind:     global_buffer
      - .actual_access:  read_only
        .address_space:  global
        .offset:         48
        .size:           8
        .value_kind:     global_buffer
      - .actual_access:  read_only
        .address_space:  global
        .offset:         56
        .size:           8
        .value_kind:     global_buffer
      - .actual_access:  read_only
        .address_space:  global
        .offset:         64
        .size:           8
        .value_kind:     global_buffer
      - .offset:         72
        .size:           4
        .value_kind:     by_value
      - .actual_access:  read_only
        .address_space:  global
        .offset:         80
        .size:           8
        .value_kind:     global_buffer
      - .offset:         88
        .size:           16
        .value_kind:     by_value
      - .address_space:  global
        .offset:         104
        .size:           8
        .value_kind:     global_buffer
      - .offset:         112
        .size:           4
        .value_kind:     by_value
      - .offset:         116
        .size:           1
        .value_kind:     by_value
    .group_segment_fixed_size: 0
    .kernarg_segment_align: 8
    .kernarg_segment_size: 120
    .language:       OpenCL C
    .language_version:
      - 2
      - 0
    .max_flat_workgroup_size: 256
    .name:           _ZN9rocsparseL22bsrxmvn_general_kernelILj256ELj16E21rocsparse_complex_numIdEliS1_IfES2_S2_EEv20rocsparse_direction_NS_24const_host_device_scalarIT1_EET3_PKS8_PKT2_SD_SA_PKT4_S8_PKT5_S7_PT6_21rocsparse_index_base_b
    .private_segment_fixed_size: 0
    .sgpr_count:     34
    .sgpr_spill_count: 0
    .symbol:         _ZN9rocsparseL22bsrxmvn_general_kernelILj256ELj16E21rocsparse_complex_numIdEliS1_IfES2_S2_EEv20rocsparse_direction_NS_24const_host_device_scalarIT1_EET3_PKS8_PKT2_SD_SA_PKT4_S8_PKT5_S7_PT6_21rocsparse_index_base_b.kd
    .uniform_work_group_size: 1
    .uses_dynamic_stack: false
    .vgpr_count:     37
    .vgpr_spill_count: 0
    .wavefront_size: 32
    .workgroup_processor_mode: 1
  - .args:
      - .offset:         0
        .size:           4
        .value_kind:     by_value
      - .offset:         8
        .size:           16
        .value_kind:     by_value
      - .offset:         24
        .size:           4
        .value_kind:     by_value
      - .actual_access:  read_only
        .address_space:  global
        .offset:         32
        .size:           8
        .value_kind:     global_buffer
      - .actual_access:  read_only
        .address_space:  global
        .offset:         40
        .size:           8
        .value_kind:     global_buffer
      - .actual_access:  read_only
        .address_space:  global
        .offset:         48
        .size:           8
        .value_kind:     global_buffer
      - .actual_access:  read_only
        .address_space:  global
        .offset:         56
        .size:           8
        .value_kind:     global_buffer
      - .actual_access:  read_only
        .address_space:  global
        .offset:         64
        .size:           8
        .value_kind:     global_buffer
      - .offset:         72
        .size:           4
        .value_kind:     by_value
      - .actual_access:  read_only
        .address_space:  global
        .offset:         80
        .size:           8
        .value_kind:     global_buffer
      - .offset:         88
        .size:           16
        .value_kind:     by_value
      - .address_space:  global
        .offset:         104
        .size:           8
        .value_kind:     global_buffer
      - .offset:         112
        .size:           4
        .value_kind:     by_value
      - .offset:         116
        .size:           1
        .value_kind:     by_value
    .group_segment_fixed_size: 0
    .kernarg_segment_align: 8
    .kernarg_segment_size: 120
    .language:       OpenCL C
    .language_version:
      - 2
      - 0
    .max_flat_workgroup_size: 1024
    .name:           _ZN9rocsparseL22bsrxmvn_general_kernelILj1024ELj32E21rocsparse_complex_numIdEliS1_IfES2_S2_EEv20rocsparse_direction_NS_24const_host_device_scalarIT1_EET3_PKS8_PKT2_SD_SA_PKT4_S8_PKT5_S7_PT6_21rocsparse_index_base_b
    .private_segment_fixed_size: 0
    .sgpr_count:     34
    .sgpr_spill_count: 0
    .symbol:         _ZN9rocsparseL22bsrxmvn_general_kernelILj1024ELj32E21rocsparse_complex_numIdEliS1_IfES2_S2_EEv20rocsparse_direction_NS_24const_host_device_scalarIT1_EET3_PKS8_PKT2_SD_SA_PKT4_S8_PKT5_S7_PT6_21rocsparse_index_base_b.kd
    .uniform_work_group_size: 1
    .uses_dynamic_stack: false
    .vgpr_count:     38
    .vgpr_spill_count: 0
    .wavefront_size: 32
    .workgroup_processor_mode: 1
  - .args:
      - .offset:         0
        .size:           4
        .value_kind:     by_value
      - .offset:         8
        .size:           16
        .value_kind:     by_value
      - .offset:         24
        .size:           8
        .value_kind:     by_value
      - .actual_access:  read_only
        .address_space:  global
        .offset:         32
        .size:           8
        .value_kind:     global_buffer
      - .actual_access:  read_only
        .address_space:  global
        .offset:         40
        .size:           8
        .value_kind:     global_buffer
      - .actual_access:  read_only
        .address_space:  global
        .offset:         48
        .size:           8
        .value_kind:     global_buffer
      - .actual_access:  read_only
        .address_space:  global
        .offset:         56
        .size:           8
        .value_kind:     global_buffer
      - .actual_access:  read_only
        .address_space:  global
        .offset:         64
        .size:           8
        .value_kind:     global_buffer
      - .offset:         72
        .size:           8
        .value_kind:     by_value
      - .actual_access:  read_only
        .address_space:  global
        .offset:         80
        .size:           8
        .value_kind:     global_buffer
      - .offset:         88
        .size:           16
        .value_kind:     by_value
      - .address_space:  global
        .offset:         104
        .size:           8
        .value_kind:     global_buffer
      - .offset:         112
        .size:           4
        .value_kind:     by_value
      - .offset:         116
        .size:           1
        .value_kind:     by_value
    .group_segment_fixed_size: 0
    .kernarg_segment_align: 8
    .kernarg_segment_size: 120
    .language:       OpenCL C
    .language_version:
      - 2
      - 0
    .max_flat_workgroup_size: 64
    .name:           _ZN9rocsparseL22bsrxmvn_general_kernelILj64ELj8E21rocsparse_complex_numIdEllS1_IfES2_S2_EEv20rocsparse_direction_NS_24const_host_device_scalarIT1_EET3_PKS8_PKT2_SD_SA_PKT4_S8_PKT5_S7_PT6_21rocsparse_index_base_b
    .private_segment_fixed_size: 0
    .sgpr_count:     36
    .sgpr_spill_count: 0
    .symbol:         _ZN9rocsparseL22bsrxmvn_general_kernelILj64ELj8E21rocsparse_complex_numIdEllS1_IfES2_S2_EEv20rocsparse_direction_NS_24const_host_device_scalarIT1_EET3_PKS8_PKT2_SD_SA_PKT4_S8_PKT5_S7_PT6_21rocsparse_index_base_b.kd
    .uniform_work_group_size: 1
    .uses_dynamic_stack: false
    .vgpr_count:     37
    .vgpr_spill_count: 0
    .wavefront_size: 32
    .workgroup_processor_mode: 1
  - .args:
      - .offset:         0
        .size:           4
        .value_kind:     by_value
      - .offset:         8
        .size:           16
        .value_kind:     by_value
      - .offset:         24
        .size:           8
        .value_kind:     by_value
      - .actual_access:  read_only
        .address_space:  global
        .offset:         32
        .size:           8
        .value_kind:     global_buffer
      - .actual_access:  read_only
        .address_space:  global
        .offset:         40
        .size:           8
        .value_kind:     global_buffer
      - .actual_access:  read_only
        .address_space:  global
        .offset:         48
        .size:           8
        .value_kind:     global_buffer
      - .actual_access:  read_only
        .address_space:  global
        .offset:         56
        .size:           8
        .value_kind:     global_buffer
      - .actual_access:  read_only
        .address_space:  global
        .offset:         64
        .size:           8
        .value_kind:     global_buffer
      - .offset:         72
        .size:           8
        .value_kind:     by_value
      - .actual_access:  read_only
        .address_space:  global
        .offset:         80
        .size:           8
        .value_kind:     global_buffer
      - .offset:         88
        .size:           16
        .value_kind:     by_value
      - .address_space:  global
        .offset:         104
        .size:           8
        .value_kind:     global_buffer
      - .offset:         112
        .size:           4
        .value_kind:     by_value
      - .offset:         116
        .size:           1
        .value_kind:     by_value
    .group_segment_fixed_size: 0
    .kernarg_segment_align: 8
    .kernarg_segment_size: 120
    .language:       OpenCL C
    .language_version:
      - 2
      - 0
    .max_flat_workgroup_size: 256
    .name:           _ZN9rocsparseL22bsrxmvn_general_kernelILj256ELj16E21rocsparse_complex_numIdEllS1_IfES2_S2_EEv20rocsparse_direction_NS_24const_host_device_scalarIT1_EET3_PKS8_PKT2_SD_SA_PKT4_S8_PKT5_S7_PT6_21rocsparse_index_base_b
    .private_segment_fixed_size: 0
    .sgpr_count:     33
    .sgpr_spill_count: 0
    .symbol:         _ZN9rocsparseL22bsrxmvn_general_kernelILj256ELj16E21rocsparse_complex_numIdEllS1_IfES2_S2_EEv20rocsparse_direction_NS_24const_host_device_scalarIT1_EET3_PKS8_PKT2_SD_SA_PKT4_S8_PKT5_S7_PT6_21rocsparse_index_base_b.kd
    .uniform_work_group_size: 1
    .uses_dynamic_stack: false
    .vgpr_count:     38
    .vgpr_spill_count: 0
    .wavefront_size: 32
    .workgroup_processor_mode: 1
  - .args:
      - .offset:         0
        .size:           4
        .value_kind:     by_value
      - .offset:         8
        .size:           16
        .value_kind:     by_value
      - .offset:         24
        .size:           8
        .value_kind:     by_value
      - .actual_access:  read_only
        .address_space:  global
        .offset:         32
        .size:           8
        .value_kind:     global_buffer
      - .actual_access:  read_only
        .address_space:  global
        .offset:         40
        .size:           8
        .value_kind:     global_buffer
      - .actual_access:  read_only
        .address_space:  global
        .offset:         48
        .size:           8
        .value_kind:     global_buffer
      - .actual_access:  read_only
        .address_space:  global
        .offset:         56
        .size:           8
        .value_kind:     global_buffer
      - .actual_access:  read_only
        .address_space:  global
        .offset:         64
        .size:           8
        .value_kind:     global_buffer
      - .offset:         72
        .size:           8
        .value_kind:     by_value
      - .actual_access:  read_only
        .address_space:  global
        .offset:         80
        .size:           8
        .value_kind:     global_buffer
      - .offset:         88
        .size:           16
        .value_kind:     by_value
      - .address_space:  global
        .offset:         104
        .size:           8
        .value_kind:     global_buffer
      - .offset:         112
        .size:           4
        .value_kind:     by_value
      - .offset:         116
        .size:           1
        .value_kind:     by_value
    .group_segment_fixed_size: 0
    .kernarg_segment_align: 8
    .kernarg_segment_size: 120
    .language:       OpenCL C
    .language_version:
      - 2
      - 0
    .max_flat_workgroup_size: 1024
    .name:           _ZN9rocsparseL22bsrxmvn_general_kernelILj1024ELj32E21rocsparse_complex_numIdEllS1_IfES2_S2_EEv20rocsparse_direction_NS_24const_host_device_scalarIT1_EET3_PKS8_PKT2_SD_SA_PKT4_S8_PKT5_S7_PT6_21rocsparse_index_base_b
    .private_segment_fixed_size: 0
    .sgpr_count:     36
    .sgpr_spill_count: 0
    .symbol:         _ZN9rocsparseL22bsrxmvn_general_kernelILj1024ELj32E21rocsparse_complex_numIdEllS1_IfES2_S2_EEv20rocsparse_direction_NS_24const_host_device_scalarIT1_EET3_PKS8_PKT2_SD_SA_PKT4_S8_PKT5_S7_PT6_21rocsparse_index_base_b.kd
    .uniform_work_group_size: 1
    .uses_dynamic_stack: false
    .vgpr_count:     39
    .vgpr_spill_count: 0
    .wavefront_size: 32
    .workgroup_processor_mode: 1
amdhsa.target:   amdgcn-amd-amdhsa--gfx1201
amdhsa.version:
  - 1
  - 2
...

	.end_amdgpu_metadata
